;; amdgpu-corpus repo=ROCm/rccl kind=compiled arch=gfx1250 opt=O3
	.amdgcn_target "amdgcn-amd-amdhsa--gfx1250"
	.amdhsa_code_object_version 6
	.text
	.p2align	2                               ; -- Begin function _ZN12_GLOBAL__N_17runRingIa7FuncSumIaE7ProtoLLLi0ELi1ELi0ELb0EEEviiP15ncclDevWorkColl
	.type	_ZN12_GLOBAL__N_17runRingIa7FuncSumIaE7ProtoLLLi0ELi1ELi0ELb0EEEviiP15ncclDevWorkColl,@function
_ZN12_GLOBAL__N_17runRingIa7FuncSumIaE7ProtoLLLi0ELi1ELi0ELb0EEEviiP15ncclDevWorkColl: ; @_ZN12_GLOBAL__N_17runRingIa7FuncSumIaE7ProtoLLLi0ELi1ELi0ELb0EEEviiP15ncclDevWorkColl
; %bb.0:
	s_wait_loadcnt_dscnt 0x0
	s_wait_kmcnt 0x0
	s_clause 0xf
	scratch_store_b32 off, v40, s32 offset:60
	; meta instruction
	scratch_store_b32 off, v41, s32 offset:56
	; meta instruction
	;; [unrolled: 2-line block ×15, first 2 shown]
	scratch_store_b32 off, v63, s32
	s_trap 2
	s_clause 0x2
	flat_load_b32 v14, v[2:3]
	flat_load_b128 v[4:7], v[2:3] offset:72
	flat_load_b64 v[12:13], v[2:3] offset:88
	v_mov_b32_e32 v18, v1
	ds_load_b32 v8, v0
	ds_load_b64 v[22:23], v0
	s_mov_b32 s0, exec_lo
                                        ; implicit-def: $vgpr20_vgpr21
	s_wait_dscnt 0x1
	v_readfirstlane_b32 s10, v8
	s_wait_loadcnt 0x2
	v_bfe_u32 v9, v14, 8, 8
	v_bitop3_b32 v1, v14, 0xff, v14 bitop3:0x3f
	s_delay_alu instid0(VALU_DEP_1) | instskip(NEXT) | instid1(VALU_DEP_1)
	v_add_nc_u32_e32 v10, v9, v1
	v_ashrrev_i32_e32 v11, 31, v10
	s_wait_loadcnt 0x1
	s_delay_alu instid0(VALU_DEP_1) | instskip(SKIP_2) | instid1(VALU_DEP_1)
	v_mul_u64_e32 v[16:17], v[6:7], v[10:11]
	v_and_b32_e32 v10, 0xff, v14
                                        ; implicit-def: $vgpr14_vgpr15
	s_wait_xcnt 0x0
	v_cmpx_ne_u32_e64 v8, v10
	s_xor_b32 s0, exec_lo, s0
	s_cbranch_execz .LBB0_6
; %bb.1:
	s_mov_b32 s1, exec_lo
                                        ; implicit-def: $vgpr14_vgpr15
                                        ; implicit-def: $vgpr20_vgpr21
	v_cmpx_ne_u32_e64 v8, v9
	s_xor_b32 s1, exec_lo, s1
	s_cbranch_execz .LBB0_3
; %bb.2:
	flat_load_b64 v[10:11], v[2:3] offset:96
	v_add_nc_u32_e32 v1, v8, v1
	s_delay_alu instid0(VALU_DEP_1) | instskip(NEXT) | instid1(VALU_DEP_1)
	v_mad_nc_u64_u32 v[20:21], v6, v1, v[4:5]
	v_mad_u32 v8, v7, v1, v21
	v_ashrrev_i32_e32 v1, 31, v1
	s_delay_alu instid0(VALU_DEP_1)
	v_mad_u32 v21, v6, v1, v8
	s_wait_loadcnt_dscnt 0x0
	v_lshrrev_b64 v[14:15], 21, v[10:11]
.LBB0_3:
	s_wait_xcnt 0x0
	s_and_not1_saveexec_b32 s1, s1
	s_cbranch_execz .LBB0_5
; %bb.4:
	flat_load_b32 v1, v[2:3] offset:100
	v_add_nc_u64_e32 v[20:21], v[16:17], v[4:5]
	s_wait_loadcnt 0x1
	v_mov_b64_e32 v[6:7], v[12:13]
	s_wait_loadcnt_dscnt 0x0
	v_lshrrev_b32_e32 v14, 10, v1
.LBB0_5:
	s_wait_xcnt 0x0
	s_or_b32 exec_lo, exec_lo, s1
.LBB0_6:
	s_and_not1_saveexec_b32 s0, s0
	s_cbranch_execz .LBB0_8
; %bb.7:
	flat_load_b64 v[14:15], v[2:3] offset:96
	v_mov_b64_e32 v[20:21], 0
	v_mov_b64_e32 v[6:7], v[4:5]
.LBB0_8:
	s_wait_xcnt 0x0
	s_or_b32 exec_lo, exec_lo, s0
	flat_load_b128 v[8:11], v[2:3] offset:16
	s_wait_loadcnt 0x1
	v_add_nc_u64_e32 v[4:5], v[12:13], v[4:5]
	s_mov_b32 s0, exec_lo
	s_delay_alu instid0(VALU_DEP_1)
	v_add_nc_u64_e32 v[24:25], v[4:5], v[16:17]
	s_wait_xcnt 0x0
	v_cmpx_ge_i32_e64 v0, v18
	s_xor_b32 s0, exec_lo, s0
	s_cbranch_execz .LBB0_33
; %bb.9:
	s_wait_dscnt 0x1
	flat_load_b32 v2, v[22:23]
	s_mov_b32 s1, exec_lo
	s_wait_loadcnt_dscnt 0x0
	v_ashrrev_i32_e32 v3, 31, v2
	s_delay_alu instid0(VALU_DEP_1) | instskip(NEXT) | instid1(VALU_DEP_1)
	v_mul_u64_e32 v[2:3], v[24:25], v[2:3]
	v_add_nc_u64_e32 v[4:5], v[8:9], v[2:3]
	s_wait_xcnt 0x0
	s_delay_alu instid0(VALU_DEP_1)
	v_cmpx_ne_u64_e64 v[10:11], v[4:5]
	s_cbranch_execz .LBB0_32
; %bb.10:
	v_sub_nc_u32_e32 v17, v0, v18
	v_add_nc_u64_e32 v[8:9], v[8:9], v[20:21]
	s_mov_b32 s2, 0
	s_mov_b32 s3, 0
	s_mov_b32 s4, exec_lo
	v_ashrrev_i16 v0, 15, v17
	s_delay_alu instid0(VALU_DEP_2) | instskip(NEXT) | instid1(VALU_DEP_2)
	v_add_nc_u64_e32 v[2:3], v[8:9], v[2:3]
	v_lshrrev_b16 v0, 11, v0
	s_delay_alu instid0(VALU_DEP_1) | instskip(NEXT) | instid1(VALU_DEP_1)
	v_add_nc_u16 v5, v17, v0
	v_and_b32_e32 v0, 0xffffffe0, v5
	s_delay_alu instid0(VALU_DEP_1) | instskip(SKIP_1) | instid1(VALU_DEP_2)
	v_sub_nc_u16 v4, v17, v0
	v_add_nc_u64_e32 v[0:1], v[10:11], v[20:21]
	v_cmpx_gt_i16_e32 1, v4
; %bb.11:
	s_delay_alu instid0(VALU_DEP_2) | instskip(NEXT) | instid1(VALU_DEP_1)
	v_bitop3_b32 v8, v0, 15, v2 bitop3:0xc8
	v_cmp_ne_u32_e32 vcc_lo, 0, v8
	s_and_b32 s3, vcc_lo, exec_lo
; %bb.12:
	s_or_b32 exec_lo, exec_lo, s4
	v_cndmask_b32_e64 v8, 0, 1, s3
	v_ashrrev_i16 v20, 5, v5
	s_delay_alu instid0(VALU_DEP_2)
	v_cmp_ne_u32_e32 vcc_lo, 0, v8
	s_cbranch_vccz .LBB0_14
; %bb.13:
	v_mov_b64_e32 v[8:9], 0
	s_mov_b32 s5, -1
	s_mov_b32 s4, 0
                                        ; implicit-def: $vgpr10_vgpr11
                                        ; implicit-def: $vgpr4_vgpr5
                                        ; implicit-def: $vgpr15
	s_and_saveexec_b32 s3, s5
	s_cbranch_execnz .LBB0_23
	s_branch .LBB0_26
.LBB0_14:
	v_dual_ashrrev_i32 v5, 31, v7 :: v_dual_mov_b32 v9, 0
	s_delay_alu instid0(VALU_DEP_3) | instskip(SKIP_2) | instid1(VALU_DEP_2)
	v_bfe_i32 v10, v20, 0, 16
	s_mov_b32 s5, 0
	s_mov_b32 s4, -1
	v_lshrrev_b32_e32 v8, 22, v5
                                        ; implicit-def: $vgpr17
	s_delay_alu instid0(VALU_DEP_2) | instskip(NEXT) | instid1(VALU_DEP_2)
	v_ashrrev_i32_e32 v11, 31, v10
	v_add_nc_u64_e32 v[8:9], v[6:7], v[8:9]
	s_delay_alu instid0(VALU_DEP_1) | instskip(SKIP_1) | instid1(VALU_DEP_2)
	v_ashrrev_i64 v[12:13], 10, v[8:9]
	v_mov_b64_e32 v[8:9], 0
	v_sub_nc_u64_e32 v[14:15], v[12:13], v[10:11]
                                        ; implicit-def: $vgpr10_vgpr11
	s_delay_alu instid0(VALU_DEP_1)
	v_cmp_gt_i64_e32 vcc_lo, 1, v[14:15]
	v_bfe_i32 v15, v4, 0, 16
                                        ; implicit-def: $vgpr4_vgpr5
	s_and_saveexec_b32 s3, vcc_lo
	s_cbranch_execz .LBB0_22
; %bb.15:
	v_lshlrev_b64_e32 v[4:5], 10, v[12:13]
	v_mov_b64_e32 v[8:9], 0
	s_mov_b32 s6, 0
	s_mov_b32 s2, exec_lo
                                        ; implicit-def: $vgpr10_vgpr11
                                        ; implicit-def: $vgpr12_vgpr13
                                        ; implicit-def: $vgpr17
	s_delay_alu instid0(VALU_DEP_2)
	v_cmpx_ne_u64_e64 v[6:7], v[4:5]
	s_cbranch_execz .LBB0_21
; %bb.16:
	v_sub_nc_u64_e32 v[18:19], v[6:7], v[4:5]
	s_mov_b32 s4, exec_lo
	s_delay_alu instid0(VALU_DEP_1) | instskip(NEXT) | instid1(VALU_DEP_1)
	v_dual_mov_b32 v11, 0 :: v_dual_ashrrev_i32 v7, 31, v19
	v_lshrrev_b32_e32 v10, 23, v7
	s_delay_alu instid0(VALU_DEP_1) | instskip(NEXT) | instid1(VALU_DEP_1)
	v_add_nc_u64_e32 v[8:9], v[18:19], v[10:11]
	v_ashrrev_i64 v[16:17], 9, v[8:9]
	v_and_b32_e32 v8, 0xfffffe00, v8
	s_delay_alu instid0(VALU_DEP_1) | instskip(SKIP_1) | instid1(VALU_DEP_2)
	v_sub_nc_u64_e32 v[12:13], v[18:19], v[8:9]
	v_add_nc_u64_e32 v[8:9], v[8:9], v[4:5]
	v_cmpx_lt_i64_e32 15, v[12:13]
; %bb.17:
	v_and_b32_e32 v10, 15, v6
	v_add_nc_u64_e32 v[16:17], 1, v[16:17]
	s_delay_alu instid0(VALU_DEP_2) | instskip(SKIP_1) | instid1(VALU_DEP_2)
	v_sub_nc_u64_e32 v[6:7], v[12:13], v[10:11]
	v_mov_b64_e32 v[12:13], v[10:11]
	v_add_nc_u64_e32 v[8:9], v[6:7], v[8:9]
; %bb.18:
	s_or_b32 exec_lo, exec_lo, s4
	v_lshlrev_b32_e32 v6, 5, v14
	s_mov_b32 s4, 0
	s_mov_b32 s5, -1
	s_mov_b32 s6, exec_lo
                                        ; implicit-def: $vgpr17
	s_delay_alu instid0(VALU_DEP_1) | instskip(NEXT) | instid1(VALU_DEP_1)
	v_sub_nc_u32_e32 v6, v15, v6
	v_ashrrev_i32_e32 v7, 31, v6
	s_delay_alu instid0(VALU_DEP_1) | instskip(NEXT) | instid1(VALU_DEP_1)
	v_lshrrev_b32_e32 v7, 27, v7
	v_add_nc_u32_e32 v7, v6, v7
	s_delay_alu instid0(VALU_DEP_1) | instskip(NEXT) | instid1(VALU_DEP_1)
	v_and_b32_e32 v10, 0xffffffe0, v7
	v_dual_ashrrev_i32 v7, 5, v7 :: v_dual_sub_nc_u32 v6, v6, v10
	s_delay_alu instid0(VALU_DEP_1) | instskip(NEXT) | instid1(VALU_DEP_1)
	v_lshlrev_b32_e32 v10, 4, v6
	v_lshl_add_u32 v10, v7, 9, v10
	s_delay_alu instid0(VALU_DEP_1) | instskip(NEXT) | instid1(VALU_DEP_1)
	v_ashrrev_i32_e32 v11, 31, v10
	v_sub_nc_u64_e32 v[18:19], v[18:19], v[10:11]
	s_delay_alu instid0(VALU_DEP_1)
	v_cmpx_gt_i64_e32 16, v[18:19]
; %bb.19:
	v_sub_nc_u32_e32 v7, v7, v16
	v_cmp_ne_u64_e32 vcc_lo, 0, v[12:13]
	s_xor_b32 s5, exec_lo, -1
	s_delay_alu instid0(VALU_DEP_2)
	v_lshl_add_u32 v17, v7, 5, v6
	s_and_b32 s4, vcc_lo, exec_lo
; %bb.20:
	s_or_b32 exec_lo, exec_lo, s6
	s_delay_alu instid0(SALU_CYCLE_1)
	s_and_b32 s6, s5, exec_lo
	s_and_b32 s5, s4, exec_lo
.LBB0_21:
	s_or_b32 exec_lo, exec_lo, s2
	v_mov_b64_e32 v[6:7], v[12:13]
	s_xor_b32 s4, exec_lo, -1
	s_and_b32 s2, s6, exec_lo
	s_and_b32 s5, s5, exec_lo
.LBB0_22:
	s_or_b32 exec_lo, exec_lo, s3
	s_and_saveexec_b32 s3, s5
	s_cbranch_execz .LBB0_26
.LBB0_23:
	v_dual_ashrrev_i32 v12, 31, v17 :: v_dual_ashrrev_i32 v13, 31, v7
	s_delay_alu instid0(VALU_DEP_1) | instskip(NEXT) | instid1(VALU_DEP_1)
	v_dual_lshrrev_b32 v14, 27, v12 :: v_dual_lshrrev_b32 v12, 24, v13
	v_dual_mov_b32 v13, 0 :: v_dual_add_nc_u32 v14, v17, v14
	s_delay_alu instid0(VALU_DEP_1) | instskip(NEXT) | instid1(VALU_DEP_2)
	v_add_nc_u64_e32 v[12:13], v[6:7], v[12:13]
	v_ashrrev_i32_e32 v6, 5, v14
	s_delay_alu instid0(VALU_DEP_2) | instskip(NEXT) | instid1(VALU_DEP_2)
	v_ashrrev_i64 v[12:13], 8, v[12:13]
	v_ashrrev_i32_e32 v7, 31, v6
	s_delay_alu instid0(VALU_DEP_1)
	v_cmp_gt_i64_e32 vcc_lo, v[12:13], v[6:7]
	s_and_b32 exec_lo, exec_lo, vcc_lo
	s_cbranch_execz .LBB0_26
; %bb.24:
	v_lshlrev_b32_e32 v7, 5, v6
	s_mov_b32 vcc_lo, exec_lo
	s_delay_alu instid0(VALU_DEP_1) | instskip(NEXT) | instid1(VALU_DEP_1)
	v_sub_nc_u32_e32 v7, v17, v7
	v_lshl_add_u32 v6, v6, 8, v7
	s_delay_alu instid0(VALU_DEP_1) | instskip(NEXT) | instid1(VALU_DEP_1)
	v_ashrrev_i32_e32 v7, 31, v6
	v_add_nc_u64_e32 v[8:9], v[8:9], v[6:7]
	s_delay_alu instid0(VALU_DEP_1)
	v_add_nc_u64_e32 v[6:7], v[8:9], v[2:3]
	v_add_nc_u64_e32 v[8:9], v[8:9], v[0:1]
.LBB0_25:                               ; =>This Inner Loop Header: Depth=1
	s_clause 0x7
	flat_load_u8 v12, v[8:9] th:TH_LOAD_NT
	flat_load_u8 v13, v[8:9] offset:32 th:TH_LOAD_NT
	flat_load_u8 v14, v[8:9] offset:64 th:TH_LOAD_NT
	;; [unrolled: 1-line block ×7, first 2 shown]
	s_wait_loadcnt_dscnt 0x707
	flat_store_b8 v[6:7], v12 th:TH_STORE_NT
	s_wait_loadcnt_dscnt 0x607
	flat_store_b8 v[6:7], v13 offset:32 th:TH_STORE_NT
	s_wait_loadcnt_dscnt 0x507
	flat_store_b8 v[6:7], v14 offset:64 th:TH_STORE_NT
	;; [unrolled: 2-line block ×7, first 2 shown]
	s_cbranch_vccnz .LBB0_25
.LBB0_26:
	s_wait_xcnt 0x0
	s_or_b32 exec_lo, exec_lo, s3
	s_and_saveexec_b32 s3, s2
	s_cbranch_execz .LBB0_29
; %bb.27:
	v_add_nc_u64_e32 v[6:7], v[4:5], v[10:11]
	s_mov_b32 vcc_lo, 0
	s_delay_alu instid0(VALU_DEP_1)
	v_add_nc_u64_e32 v[4:5], v[6:7], v[2:3]
	v_add_nc_u64_e32 v[6:7], v[6:7], v[0:1]
.LBB0_28:                               ; =>This Inner Loop Header: Depth=1
	global_load_b128 v[8:11], v[6:7], off th:TH_LOAD_NT
	s_wait_loadcnt 0x0
	global_store_b128 v[4:5], v[8:11], off th:TH_STORE_NT
	s_cbranch_vccz .LBB0_28
.LBB0_29:
	s_wait_xcnt 0x0
	s_or_b32 exec_lo, exec_lo, s3
	s_and_saveexec_b32 s2, s4
	s_delay_alu instid0(SALU_CYCLE_1)
	s_xor_b32 s2, exec_lo, s2
	s_cbranch_execz .LBB0_32
; %bb.30:
	v_bfe_i32 v4, v20, 0, 16
	v_lshlrev_b32_e32 v5, 4, v15
	s_mov_b32 vcc_lo, 0
	s_delay_alu instid0(VALU_DEP_1) | instskip(NEXT) | instid1(VALU_DEP_1)
	v_lshl_add_u32 v4, v4, 10, v5
	v_ashrrev_i32_e32 v5, 31, v4
	s_delay_alu instid0(VALU_DEP_1)
	v_add_nc_u64_e32 v[2:3], v[2:3], v[4:5]
	v_add_nc_u64_e32 v[0:1], v[0:1], v[4:5]
.LBB0_31:                               ; =>This Inner Loop Header: Depth=1
	s_clause 0x1
	global_load_b128 v[4:7], v[0:1], off th:TH_LOAD_NT
	global_load_b128 v[8:11], v[0:1], off offset:512 th:TH_LOAD_NT
	s_wait_loadcnt 0x1
	global_store_b128 v[2:3], v[4:7], off th:TH_STORE_NT
	s_wait_loadcnt 0x0
	global_store_b128 v[2:3], v[8:11], off offset:512 th:TH_STORE_NT
	s_cbranch_vccz .LBB0_31
.LBB0_32:
	s_wait_xcnt 0x0
	s_or_b32 exec_lo, exec_lo, s1
                                        ; implicit-def: $vgpr6_vgpr7
                                        ; implicit-def: $vgpr20_vgpr21
                                        ; implicit-def: $vgpr14_vgpr15
                                        ; implicit-def: $vgpr24_vgpr25
                                        ; implicit-def: $vgpr0
                                        ; implicit-def: $vgpr18
                                        ; implicit-def: $vgpr22_vgpr23
                                        ; implicit-def: $vgpr31
                                        ; implicit-def: $vgpr10_vgpr11
                                        ; implicit-def: $vgpr2_vgpr3
.LBB0_33:
	s_and_not1_saveexec_b32 s11, s0
	s_cbranch_execz .LBB0_341
; %bb.34:
	s_load_b32 s0, s[8:9], 0x0
	s_clause 0x1
	flat_load_u16 v13, v[2:3] offset:8
	flat_load_b32 v12, v[2:3] offset:4
	s_bfe_u32 s1, ttmp6, 0x4000c
	s_and_b32 s2, ttmp6, 15
	s_add_co_i32 s1, s1, 1
	s_getreg_b32 s3, hwreg(HW_REG_IB_STS2, 6, 4)
	s_mul_i32 s1, ttmp9, s1
	v_mov_b32_e32 v1, 0
	s_add_co_i32 s2, s2, s1
	s_cmp_eq_u32 s3, 0
	s_mov_b32 s1, 0
	s_cselect_b32 s2, ttmp9, s2
	v_mov_b64_e32 v[26:27], 0
	s_wait_kmcnt 0x0
	s_cmp_lt_u32 s2, s0
	s_cselect_b32 s0, 12, 18
	s_delay_alu instid0(SALU_CYCLE_1)
	s_add_nc_u64 s[2:3], s[8:9], s[0:1]
	s_wait_dscnt 0x3
	global_load_u16 v15, v1, s[2:3]
	s_wait_xcnt 0x0
	v_ashrrev_i32_e32 v1, 31, v0
	s_trap 2
	ds_load_b32 v4, v0
	s_wait_dscnt 0x0
	v_cmp_gt_i32_e32 vcc_lo, 0, v4
	v_readfirstlane_b32 s2, v4
	s_and_b32 vcc_lo, exec_lo, vcc_lo
	s_wait_loadcnt 0x1
	v_lshrrev_b64 v[12:13], 31, v[12:13]
	s_delay_alu instid0(VALU_DEP_1) | instskip(NEXT) | instid1(VALU_DEP_1)
	v_dual_lshrrev_b32 v2, 27, v1 :: v_dual_bitop2_b32 v3, 3, v12 bitop3:0x40
	v_add_nc_u32_e32 v2, v0, v2
	s_delay_alu instid0(VALU_DEP_2) | instskip(NEXT) | instid1(VALU_DEP_2)
	v_and_b32_e32 v3, 0xffff, v3
	v_and_b32_e32 v2, 0xffffffe0, v2
	s_delay_alu instid0(VALU_DEP_1) | instskip(NEXT) | instid1(VALU_DEP_1)
	v_sub_nc_u32_e32 v2, v0, v2
	v_cmp_eq_u32_e64 s0, 0, v2
	s_cbranch_vccnz .LBB0_36
; %bb.35:
	s_trap 2
	ds_load_b64 v[12:13], v0
	s_mov_b32 s1, 1
	s_wait_dscnt 0x0
	v_readfirstlane_b32 s4, v12
	v_readfirstlane_b32 s5, v13
	flat_load_b64 v[4:5], v4, s[4:5] scale_offset
	s_wait_loadcnt_dscnt 0x0
	v_mad_nc_u64_u32 v[4:5], 0xa8, v3, v[4:5]
	s_clause 0x1
	flat_load_b64 v[32:33], v[4:5] offset:504
	flat_load_b64 v[34:35], v[4:5] offset:608
	v_add_nc_u64_e32 v[28:29], 0x1f8, v[4:5]
	s_wait_xcnt 0x0
	s_delay_alu instid0(VALU_DEP_1)
	v_dual_cndmask_b32 v5, 0, v29, s0 :: v_dual_cndmask_b32 v4, 0, v28, s0
	s_branch .LBB0_37
.LBB0_36:
	v_mov_b64_e32 v[28:29], 0
	v_mov_b64_e32 v[4:5], 0
                                        ; implicit-def: $vgpr34_vgpr35
                                        ; implicit-def: $vgpr32_vgpr33
.LBB0_37:
	s_trap 2
	ds_load_b32 v12, v0
	s_wait_dscnt 0x0
	v_cmp_gt_i32_e32 vcc_lo, 0, v12
	s_cbranch_vccnz .LBB0_39
; %bb.38:
	s_trap 2
	ds_load_b64 v[16:17], v0
	v_cmp_eq_u32_e32 vcc_lo, 0, v2
	s_wait_dscnt 0x0
	v_readfirstlane_b32 s4, v16
	v_readfirstlane_b32 s5, v17
	flat_load_b64 v[12:13], v12, s[4:5] scale_offset
	s_wait_loadcnt_dscnt 0x0
	v_mad_nc_u64_u32 v[26:27], 0xa8, v3, v[12:13]
	s_clause 0x1
	flat_load_b64 v[36:37], v[26:27]
	flat_load_b64 v[102:103], v[26:27] offset:104
	s_wait_xcnt 0x2
	v_dual_cndmask_b32 v13, 0, v27 :: v_dual_cndmask_b32 v12, 0, v26
	s_branch .LBB0_40
.LBB0_39:
	v_mov_b64_e32 v[12:13], 0
                                        ; implicit-def: $vgpr102_vgpr103
                                        ; implicit-def: $vgpr36_vgpr37
.LBB0_40:
	v_subrev_nc_u32_e32 v16, 32, v18
	v_cmp_gt_i32_e32 vcc_lo, s1, v2
	v_mov_b64_e32 v[2:3], 0
	v_mov_b64_e32 v[48:49], 0
                                        ; implicit-def: $vgpr38_vgpr39
	s_delay_alu instid0(VALU_DEP_4)
	v_cmp_ge_i32_e64 s0, v0, v16
	s_and_b32 s9, s0, vcc_lo
	s_wait_xcnt 0x0
	s_and_saveexec_b32 s0, s9
	s_cbranch_execz .LBB0_42
; %bb.41:
	s_clause 0x1
	flat_load_b64 v[48:49], v[4:5] offset:56
	flat_load_b64 v[38:39], v[4:5] offset:104
.LBB0_42:
	s_wait_xcnt 0x0
	s_or_b32 exec_lo, exec_lo, s0
	v_mov_b64_e32 v[50:51], 0
	v_cmp_gt_i32_e64 s0, s1, v0
                                        ; implicit-def: $vgpr64_vgpr65
	s_and_saveexec_b32 s1, s0
	s_cbranch_execz .LBB0_44
; %bb.43:
	flat_load_b64 v[50:51], v[12:13] offset:56
	s_wait_loadcnt_dscnt 0x0
	flat_load_b64 v[64:65], v[50:51] scope:SCOPE_SYS
	s_wait_loadcnt 0x0
	flat_load_b128 v[2:5], v[12:13] offset:96
.LBB0_44:
	s_wait_xcnt 0x0
	s_or_b32 exec_lo, exec_lo, s1
	v_mov_b64_e32 v[52:53], 0
	s_wait_loadcnt 0x0
	v_and_b32_e32 v30, 0xffff, v15
	s_mov_b32 s12, exec_lo
	v_cmpx_ne_u64_e32 0, v[6:7]
	s_cbranch_execnz .LBB0_60
; %bb.45:
	s_or_b32 exec_lo, exec_lo, s12
	s_and_saveexec_b32 s1, s9
	s_cbranch_execnz .LBB0_333
.LBB0_46:
	s_or_b32 exec_lo, exec_lo, s1
	s_and_saveexec_b32 s1, s0
	s_cbranch_execz .LBB0_48
.LBB0_47:
	s_wait_dscnt 0x0
	flat_store_b64 v[26:27], v[4:5] offset:104
.LBB0_48:
	s_wait_xcnt 0x0
	s_or_b32 exec_lo, exec_lo, s1
	s_delay_alu instid0(SALU_CYCLE_1)
	s_mov_b32 s0, exec_lo
	v_cmpx_ne_u32_e32 32, v18
	s_cbranch_execz .LBB0_340
; %bb.49:
	s_mov_b32 s1, exec_lo
	v_cmpx_ne_u32_e64 v18, v30
	s_xor_b32 s1, exec_lo, s1
	s_cbranch_execz .LBB0_338
; %bb.50:
	v_and_b32_e32 v0, 31, v31
	s_mov_b32 s2, exec_lo
	s_delay_alu instid0(VALU_DEP_1)
	v_cmpx_eq_u32_e32 0, v0
	s_cbranch_execz .LBB0_337
; %bb.51:
	s_mov_b32 s4, exec_lo
	s_mov_b32 s3, exec_lo
	v_mbcnt_lo_u32_b32 v0, s4, 0
	global_wb scope:SCOPE_DEV
	s_wait_storecnt 0x0
	s_wait_loadcnt_dscnt 0x0
	global_inv scope:SCOPE_DEV
	v_cmpx_eq_u32_e32 0, v0
	s_cbranch_execz .LBB0_53
; %bb.52:
	s_bcnt1_i32_b32 s4, s4
	s_delay_alu instid0(SALU_CYCLE_1)
	v_dual_mov_b32 v1, 0 :: v_dual_mov_b32 v0, s4
	s_wait_loadcnt 0x0
	ds_add_u64 v0, v[0:1]
	s_trap 2
.LBB0_53:
	s_or_b32 exec_lo, exec_lo, s3
	s_trap 2
	ds_load_b64 v[2:3], v0
	s_wait_dscnt 0x0
	v_dual_mov_b32 v1, 0 :: v_dual_lshrrev_b32 v0, 5, v18
	s_mov_b32 s3, exec_lo
	s_delay_alu instid0(VALU_DEP_1) | instskip(NEXT) | instid1(VALU_DEP_1)
	v_add_nc_u64_e32 v[0:1], v[52:53], v[0:1]
	v_cmpx_lt_u64_e64 v[2:3], v[0:1]
	s_cbranch_execz .LBB0_336
; %bb.54:
	s_mov_b32 s4, 0
	s_mov_b32 s7, 0
                                        ; implicit-def: $sgpr5
                                        ; implicit-def: $sgpr6
	s_branch .LBB0_56
.LBB0_55:                               ;   in Loop: Header=BB0_56 Depth=1
	s_or_b32 exec_lo, exec_lo, s9
	s_delay_alu instid0(SALU_CYCLE_1) | instskip(NEXT) | instid1(SALU_CYCLE_1)
	s_and_b32 s8, exec_lo, s10
	s_or_b32 s4, s8, s4
	s_and_not1_b32 s5, s5, exec_lo
	s_and_b32 s8, s6, exec_lo
	s_delay_alu instid0(SALU_CYCLE_1)
	s_or_b32 s5, s5, s8
	s_and_not1_b32 exec_lo, exec_lo, s4
	s_cbranch_execz .LBB0_334
.LBB0_56:                               ; =>This Inner Loop Header: Depth=1
	s_add_co_i32 s7, s7, 1
	s_delay_alu instid0(SALU_CYCLE_1) | instskip(SKIP_1) | instid1(SALU_CYCLE_1)
	s_cmp_lg_u32 s7, 0x2710
	s_cselect_b32 s8, -1, 0
	s_and_b32 vcc_lo, exec_lo, s8
	s_cbranch_vccz .LBB0_58
; %bb.57:                               ;   in Loop: Header=BB0_56 Depth=1
	s_mov_b32 s10, -1
	s_or_b32 s6, s6, exec_lo
	s_and_saveexec_b32 s9, s8
	s_cbranch_execz .LBB0_55
	s_branch .LBB0_59
.LBB0_58:                               ;   in Loop: Header=BB0_56 Depth=1
	s_trap 2
	ds_load_b64 v[2:3], v0
	s_and_not1_b32 s8, s8, exec_lo
	s_mov_b32 s7, 0
	s_wait_loadcnt_dscnt 0x0
	flat_load_b32 v2, v[2:3] scope:SCOPE_SYS
	s_wait_loadcnt_dscnt 0x0
	global_inv scope:SCOPE_SYS
	v_cmp_eq_u32_e32 vcc_lo, 0, v2
	s_and_b32 s9, vcc_lo, exec_lo
	s_delay_alu instid0(SALU_CYCLE_1)
	s_or_b32 s8, s8, s9
	s_mov_b32 s10, -1
	s_or_b32 s6, s6, exec_lo
	s_and_saveexec_b32 s9, s8
	s_cbranch_execz .LBB0_55
.LBB0_59:                               ;   in Loop: Header=BB0_56 Depth=1
	s_sleep 1
	s_trap 2
	ds_load_b64 v[2:3], v0
	s_wait_dscnt 0x0
	s_and_not1_b32 s6, s6, exec_lo
	v_cmp_ge_u64_e32 vcc_lo, v[2:3], v[0:1]
	s_or_not1_b32 s10, vcc_lo, exec_lo
	s_branch .LBB0_55
.LBB0_60:
	v_cvt_f64_u32_e32 v[12:13], 0
	v_lshlrev_b32_e32 v15, 4, v14
	s_ashr_i32 s1, s2, 31
	v_mov_b64_e32 v[70:71], 0
	s_lshr_b32 s1, s1, 29
	s_wait_dscnt 0x1
	v_cmp_ne_u64_e64 s6, 0, v[48:49]
	s_add_co_i32 s2, s2, s1
	v_cmp_ne_u64_e64 s1, 0, v[50:51]
	s_ashr_i32 s13, s2, 7
	s_wait_dscnt 0x0
	v_cmp_ne_u64_e64 s2, 0, v[2:3]
	v_cmp_ne_u32_e64 s3, 32, v18
	v_cmp_ne_u32_e64 s4, v18, v30
	v_lshlrev_b32_e32 v47, 6, v18
	v_lshl_add_u64 v[96:97], v[0:1], 4, v[36:37]
	v_mov_b32_e32 v1, 1
	s_cmp_lt_i32 s10, 3
	s_mov_b32 s14, 0
	s_cselect_b32 s15, -1, 0
	s_add_co_i32 s16, s10, -2
	v_dual_lshrrev_b32 v80, 5, v18 :: v_dual_lshlrev_b32 v84, 3, v18
	v_ldexp_f64 v[52:53], v[12:13], 32
	v_mov_b32_e32 v12, 0
	v_and_b32_e32 v54, 0x1fffff0, v15
	v_dual_lshlrev_b32 v66, 3, v0 :: v_dual_bitop2_b32 v13, 31, v31 bitop3:0x40
	s_delay_alu instid0(VALU_DEP_3) | instskip(NEXT) | instid1(VALU_DEP_3)
	v_mov_b32_e32 v55, v12
	v_cvt_f64_u32_e32 v[16:17], v54
	s_delay_alu instid0(VALU_DEP_3) | instskip(NEXT) | instid1(VALU_DEP_4)
	v_ashrrev_i32_e32 v67, 31, v66
	v_cmp_eq_u32_e64 s5, 0, v13
	v_and_b32_e32 v13, 0x1fffff, v14
	v_dual_mov_b32 v19, v12 :: v_dual_mov_b32 v81, v12
	v_not_b32_e32 v44, v66
	s_delay_alu instid0(VALU_DEP_3) | instskip(NEXT) | instid1(VALU_DEP_3)
	v_lshlrev_b32_e32 v46, 7, v13
	v_lshlrev_b64_e32 v[98:99], 4, v[18:19]
	v_dual_add_f64 v[68:69], v[52:53], v[16:17] :: v_dual_mov_b32 v19, 0
	v_add_nc_u64_e32 v[16:17], v[20:21], v[66:67]
	v_mov_b64_e32 v[52:53], 0
	s_delay_alu instid0(VALU_DEP_2) | instskip(SKIP_1) | instid1(VALU_DEP_2)
	v_add_nc_u64_e32 v[82:83], v[16:17], v[10:11]
	v_add_nc_u64_e32 v[86:87], v[8:9], v[16:17]
	v_dual_mov_b32 v85, v12 :: v_dual_lshlrev_b32 v45, 3, v82
	s_branch .LBB0_62
.LBB0_61:                               ;   in Loop: Header=BB0_62 Depth=1
	s_wait_xcnt 0x0
	s_or_b32 exec_lo, exec_lo, s7
	v_add_nc_u64_e32 v[70:71], v[70:71], v[54:55]
	v_add_nc_u64_e32 v[34:35], 1, v[34:35]
	;; [unrolled: 1-line block ×4, first 2 shown]
	v_add_nc_u32_e32 v45, v45, v46
	v_cmp_ge_u64_e32 vcc_lo, v[70:71], v[6:7]
	s_or_b32 s14, vcc_lo, s14
	s_delay_alu instid0(SALU_CYCLE_1)
	s_and_not1_b32 exec_lo, exec_lo, s14
	s_cbranch_execz .LBB0_332
.LBB0_62:                               ; =>This Loop Header: Depth=1
                                        ;     Child Loop BB0_68 Depth 2
                                        ;     Child Loop BB0_87 Depth 2
	;; [unrolled: 1-line block ×9, first 2 shown]
                                        ;       Child Loop BB0_185 Depth 3
                                        ;       Child Loop BB0_204 Depth 3
                                        ;       Child Loop BB0_226 Depth 3
                                        ;         Child Loop BB0_230 Depth 4
                                        ;       Child Loop BB0_264 Depth 3
                                        ;       Child Loop BB0_221 Depth 3
                                        ;     Child Loop BB0_282 Depth 2
                                        ;       Child Loop BB0_286 Depth 3
                                        ;     Child Loop BB0_320 Depth 2
	s_wait_loadcnt 0x0
	flat_load_b32 v14, v[22:23]
	s_wait_dscnt 0x1
	v_sub_nc_u64_e32 v[16:17], v[6:7], v[70:71]
	v_add_nc_u64_e32 v[112:113], v[70:71], v[20:21]
	s_mov_b32 s7, exec_lo
	s_delay_alu instid0(VALU_DEP_2) | instskip(NEXT) | instid1(VALU_DEP_3)
	v_cvt_f64_u32_e32 v[100:101], v17
	v_cvt_f64_u32_e32 v[16:17], v16
	s_delay_alu instid0(VALU_DEP_2) | instskip(NEXT) | instid1(VALU_DEP_1)
	v_ldexp_f64 v[100:101], v[100:101], 32
	v_add_f64_e32 v[16:17], v[100:101], v[16:17]
	s_wait_loadcnt_dscnt 0x0
	v_dual_max_num_f64 v[100:101], v[68:69], v[68:69] :: v_dual_ashrrev_i32 v15, 31, v14
	s_delay_alu instid0(VALU_DEP_1) | instskip(SKIP_1) | instid1(VALU_DEP_2)
	v_min_num_f64_e32 v[16:17], v[100:101], v[16:17]
	v_add_nc_u64_e32 v[100:101], v[8:9], v[112:113]
	v_cvt_i32_f64_e32 v13, v[16:17]
	s_delay_alu instid0(VALU_DEP_4) | instskip(SKIP_1) | instid1(VALU_DEP_3)
	v_mul_u64_e32 v[16:17], v[24:25], v[14:15]
	v_add_nc_u64_e32 v[14:15], v[10:11], v[112:113]
	v_max_i32_e32 v58, 0, v13
	s_delay_alu instid0(VALU_DEP_1) | instskip(NEXT) | instid1(VALU_DEP_1)
	v_add_nc_u32_e32 v13, 7, v58
	v_ashrrev_i32_e32 v114, 31, v13
	s_delay_alu instid0(VALU_DEP_1) | instskip(SKIP_1) | instid1(VALU_DEP_2)
	v_lshrrev_b32_e32 v116, 29, v114
	v_add_nc_u64_e32 v[114:115], v[100:101], v[16:17]
	v_add_nc_u32_e32 v13, v13, v116
	s_delay_alu instid0(VALU_DEP_1) | instskip(SKIP_1) | instid1(VALU_DEP_3)
	v_ashrrev_i32_e32 v56, 3, v13
	s_wait_xcnt 0x0
	v_cmpx_ne_u64_e64 v[14:15], v[114:115]
	s_xor_b32 s8, exec_lo, s7
	s_cbranch_execz .LBB0_128
; %bb.63:                               ;   in Loop: Header=BB0_62 Depth=1
	s_and_saveexec_b32 s17, s1
	s_cbranch_execz .LBB0_79
; %bb.64:                               ;   in Loop: Header=BB0_62 Depth=1
	v_add_nc_u64_e32 v[14:15], 1, v[4:5]
	v_add_nc_u64_e32 v[114:115], 8, v[64:65]
	s_mov_b32 s18, exec_lo
	s_delay_alu instid0(VALU_DEP_1)
	v_cmpx_lt_u64_e64 v[114:115], v[14:15]
	s_cbranch_execz .LBB0_76
; %bb.65:                               ;   in Loop: Header=BB0_62 Depth=1
	s_mov_b32 s19, 0
	s_mov_b32 s23, 0
	v_cmp_eq_u32_e32 vcc_lo, 0, v19
                                        ; implicit-def: $sgpr20
                                        ; implicit-def: $sgpr21
                                        ; implicit-def: $sgpr22
	s_branch .LBB0_68
.LBB0_66:                               ;   in Loop: Header=BB0_68 Depth=2
	s_or_b32 exec_lo, exec_lo, s28
	v_mov_b32_e32 v13, 0
	s_and_not1_b32 s7, s22, exec_lo
	s_and_b32 s22, s26, exec_lo
	s_and_not1_b32 s21, s21, exec_lo
	s_and_b32 s25, s25, exec_lo
	s_or_b32 s22, s7, s22
	s_or_b32 s21, s21, s25
.LBB0_67:                               ;   in Loop: Header=BB0_68 Depth=2
	s_or_b32 exec_lo, exec_lo, s24
	s_delay_alu instid0(SALU_CYCLE_1) | instskip(NEXT) | instid1(SALU_CYCLE_1)
	s_and_b32 s7, exec_lo, s21
	s_or_b32 s19, s7, s19
	s_and_not1_b32 s7, s20, exec_lo
	s_and_b32 s20, s22, exec_lo
	s_delay_alu instid0(SALU_CYCLE_1)
	s_or_b32 s20, s7, s20
	s_and_not1_b32 exec_lo, exec_lo, s19
	s_cbranch_execz .LBB0_73
.LBB0_68:                               ;   Parent Loop BB0_62 Depth=1
                                        ; =>  This Inner Loop Header: Depth=2
	s_sleep 1
	s_wait_loadcnt_dscnt 0x0
	flat_load_b64 v[64:65], v[50:51] scope:SCOPE_DEV
	v_mov_b32_e32 v13, v19
	s_or_b32 s22, s22, exec_lo
	s_or_b32 s21, s21, exec_lo
                                        ; implicit-def: $vgpr5
	s_wait_xcnt 0x0
	s_and_saveexec_b32 s24, vcc_lo
	s_cbranch_execz .LBB0_67
; %bb.69:                               ;   in Loop: Header=BB0_68 Depth=2
	s_add_co_i32 s23, s23, 1
	s_mov_b32 s25, -1
	s_cmp_lg_u32 s23, 0x2710
	s_mov_b32 s26, -1
	s_cselect_b32 s27, -1, 0
	s_cmp_eq_u32 s23, 0x2710
                                        ; implicit-def: $vgpr5
	s_cbranch_scc1 .LBB0_71
; %bb.70:                               ;   in Loop: Header=BB0_68 Depth=2
	s_and_saveexec_b32 s28, s27
	s_cbranch_execz .LBB0_66
	s_branch .LBB0_72
.LBB0_71:                               ;   in Loop: Header=BB0_68 Depth=2
	s_trap 2
	ds_load_b64 v[114:115], v0
	s_and_not1_b32 s23, s27, exec_lo
	s_mov_b32 s26, 0
	s_wait_storecnt 0x0
	s_wait_loadcnt_dscnt 0x0
	flat_load_b32 v5, v[114:115] scope:SCOPE_SYS
	s_wait_loadcnt_dscnt 0x0
	global_inv scope:SCOPE_SYS
	v_cmp_eq_u32_e64 s7, 0, v5
	s_and_b32 s7, s7, exec_lo
	s_delay_alu instid0(SALU_CYCLE_1)
	s_or_b32 s27, s23, s7
	s_mov_b32 s23, 0
	s_and_saveexec_b32 s28, s27
	s_cbranch_execz .LBB0_66
.LBB0_72:                               ;   in Loop: Header=BB0_68 Depth=2
	s_wait_loadcnt_dscnt 0x0
	v_add_nc_u64_e32 v[114:115], 8, v[64:65]
	s_or_b32 s26, s26, exec_lo
	s_delay_alu instid0(VALU_DEP_1)
	v_cmp_ge_u64_e64 s7, v[114:115], v[14:15]
	s_or_not1_b32 s25, s7, exec_lo
	s_branch .LBB0_66
.LBB0_73:                               ;   in Loop: Header=BB0_62 Depth=1
	s_or_b32 exec_lo, exec_lo, s19
	s_xor_b32 s7, s20, -1
	s_delay_alu instid0(SALU_CYCLE_1) | instskip(NEXT) | instid1(SALU_CYCLE_1)
	s_and_saveexec_b32 s19, s7
	s_xor_b32 s7, exec_lo, s19
	s_cbranch_execz .LBB0_75
; %bb.74:                               ;   in Loop: Header=BB0_62 Depth=1
	v_mov_b32_e32 v13, 1
	s_wait_storecnt 0x0
	s_wait_loadcnt_dscnt 0x0
	ds_store_b32 v0, v5
	s_trap 2
.LBB0_75:                               ;   in Loop: Header=BB0_62 Depth=1
	s_or_b32 exec_lo, exec_lo, s7
	v_mov_b32_e32 v19, v13
.LBB0_76:                               ;   in Loop: Header=BB0_62 Depth=1
	s_or_b32 exec_lo, exec_lo, s18
	s_and_saveexec_b32 s7, s2
	s_cbranch_execz .LBB0_78
; %bb.77:                               ;   in Loop: Header=BB0_62 Depth=1
	v_and_b32_e32 v114, 0x7ffffff8, v4
	v_dual_mov_b32 v115, v12 :: v_dual_bitop2_b32 v4, 7, v4 bitop3:0x40
	s_delay_alu instid0(VALU_DEP_1) | instskip(NEXT) | instid1(VALU_DEP_2)
	v_cmp_eq_u64_e32 vcc_lo, 0x7ffffff8, v[114:115]
	v_mad_nc_u64_u32 v[4:5], v4, 24, v[2:3]
	v_cndmask_b32_e64 v13, v56, s13, vcc_lo
	s_delay_alu instid0(VALU_DEP_1) | instskip(NEXT) | instid1(VALU_DEP_1)
	v_lshlrev_b32_e32 v114, 4, v13
	v_ashrrev_i32_e32 v115, 31, v114
	flat_store_b64 v[4:5], v[114:115] offset:8 scope:SCOPE_SYS
	s_wait_storecnt 0x0
.LBB0_78:                               ;   in Loop: Header=BB0_62 Depth=1
	s_wait_xcnt 0x0
	s_or_b32 exec_lo, exec_lo, s7
	v_mov_b64_e32 v[4:5], v[14:15]
.LBB0_79:                               ;   in Loop: Header=BB0_62 Depth=1
	s_or_b32 exec_lo, exec_lo, s17
	s_and_saveexec_b32 s7, s3
	s_cbranch_execz .LBB0_98
; %bb.80:                               ;   in Loop: Header=BB0_62 Depth=1
	s_and_saveexec_b32 s17, s4
	s_delay_alu instid0(SALU_CYCLE_1)
	s_xor_b32 s17, exec_lo, s17
	s_cbranch_execz .LBB0_95
; %bb.81:                               ;   in Loop: Header=BB0_62 Depth=1
	s_and_saveexec_b32 s18, s5
	s_cbranch_execz .LBB0_94
; %bb.82:                               ;   in Loop: Header=BB0_62 Depth=1
	s_mov_b32 s20, exec_lo
	s_mov_b32 s19, exec_lo
	v_mbcnt_lo_u32_b32 v13, s20, 0
	global_wb scope:SCOPE_DEV
	s_wait_storecnt 0x0
	s_wait_loadcnt_dscnt 0x0
	global_inv scope:SCOPE_DEV
	v_cmpx_eq_u32_e32 0, v13
	s_cbranch_execz .LBB0_84
; %bb.83:                               ;   in Loop: Header=BB0_62 Depth=1
	s_bcnt1_i32_b32 s20, s20
	s_delay_alu instid0(SALU_CYCLE_1)
	v_dual_mov_b32 v15, v12 :: v_dual_mov_b32 v14, s20
	s_wait_loadcnt 0x0
	ds_add_u64 v0, v[14:15]
	s_trap 2
.LBB0_84:                               ;   in Loop: Header=BB0_62 Depth=1
	s_or_b32 exec_lo, exec_lo, s19
	s_trap 2
	ds_load_b64 v[14:15], v0
	s_wait_dscnt 0x0
	v_add_nc_u64_e32 v[52:53], v[52:53], v[80:81]
	s_mov_b32 s19, exec_lo
	s_delay_alu instid0(VALU_DEP_1)
	v_cmpx_lt_u64_e64 v[14:15], v[52:53]
	s_cbranch_execz .LBB0_93
; %bb.85:                               ;   in Loop: Header=BB0_62 Depth=1
	s_mov_b32 s20, 0
	s_mov_b32 s23, 0
                                        ; implicit-def: $sgpr21
                                        ; implicit-def: $sgpr22
	s_branch .LBB0_87
.LBB0_86:                               ;   in Loop: Header=BB0_87 Depth=2
	s_or_b32 exec_lo, exec_lo, s25
	s_delay_alu instid0(SALU_CYCLE_1) | instskip(NEXT) | instid1(SALU_CYCLE_1)
	s_and_b32 s24, exec_lo, s26
	s_or_b32 s20, s24, s20
	s_and_not1_b32 s21, s21, exec_lo
	s_and_b32 s24, s22, exec_lo
	s_delay_alu instid0(SALU_CYCLE_1)
	s_or_b32 s21, s21, s24
	s_and_not1_b32 exec_lo, exec_lo, s20
	s_cbranch_execz .LBB0_91
.LBB0_87:                               ;   Parent Loop BB0_62 Depth=1
                                        ; =>  This Inner Loop Header: Depth=2
	s_add_co_i32 s23, s23, 1
	s_delay_alu instid0(SALU_CYCLE_1) | instskip(SKIP_1) | instid1(SALU_CYCLE_1)
	s_cmp_lg_u32 s23, 0x2710
	s_cselect_b32 s24, -1, 0
	s_and_b32 vcc_lo, exec_lo, s24
	s_cbranch_vccz .LBB0_89
; %bb.88:                               ;   in Loop: Header=BB0_87 Depth=2
	s_mov_b32 s26, -1
	s_or_b32 s22, s22, exec_lo
	s_and_saveexec_b32 s25, s24
	s_cbranch_execz .LBB0_86
	s_branch .LBB0_90
.LBB0_89:                               ;   in Loop: Header=BB0_87 Depth=2
	s_trap 2
	ds_load_b64 v[14:15], v0
	s_and_not1_b32 s24, s24, exec_lo
	s_mov_b32 s23, 0
	s_wait_loadcnt_dscnt 0x0
	flat_load_b32 v13, v[14:15] scope:SCOPE_SYS
	s_wait_loadcnt_dscnt 0x0
	global_inv scope:SCOPE_SYS
	v_cmp_eq_u32_e32 vcc_lo, 0, v13
	s_and_b32 s25, vcc_lo, exec_lo
	s_delay_alu instid0(SALU_CYCLE_1)
	s_or_b32 s24, s24, s25
	s_mov_b32 s26, -1
	s_or_b32 s22, s22, exec_lo
	s_and_saveexec_b32 s25, s24
	s_cbranch_execz .LBB0_86
.LBB0_90:                               ;   in Loop: Header=BB0_87 Depth=2
	s_sleep 1
	s_trap 2
	ds_load_b64 v[14:15], v0
	s_wait_dscnt 0x0
	s_and_not1_b32 s22, s22, exec_lo
	v_cmp_ge_u64_e32 vcc_lo, v[14:15], v[52:53]
	s_or_not1_b32 s26, vcc_lo, exec_lo
	s_branch .LBB0_86
.LBB0_91:                               ;   in Loop: Header=BB0_62 Depth=1
	s_or_b32 exec_lo, exec_lo, s20
	s_and_saveexec_b32 s20, s21
	s_delay_alu instid0(SALU_CYCLE_1)
	s_xor_b32 s20, exec_lo, s20
	s_cbranch_execz .LBB0_93
; %bb.92:                               ;   in Loop: Header=BB0_62 Depth=1
	ds_store_b32 v0, v1
	s_trap 2
.LBB0_93:                               ;   in Loop: Header=BB0_62 Depth=1
	s_or_b32 exec_lo, exec_lo, s19
	;;#ASMSTART
	s_wakeup
	;;#ASMEND
.LBB0_94:                               ;   in Loop: Header=BB0_62 Depth=1
	s_or_b32 exec_lo, exec_lo, s18
.LBB0_95:                               ;   in Loop: Header=BB0_62 Depth=1
	s_and_not1_saveexec_b32 s17, s17
	s_cbranch_execz .LBB0_97
; %bb.96:                               ;   in Loop: Header=BB0_62 Depth=1
	global_wb scope:SCOPE_DEV
	s_wait_storecnt 0x0
	s_wait_loadcnt_dscnt 0x0
	global_inv scope:SCOPE_DEV
	s_barrier_signal -1
	s_barrier_wait -1
.LBB0_97:                               ;   in Loop: Header=BB0_62 Depth=1
	s_or_b32 exec_lo, exec_lo, s17
.LBB0_98:                               ;   in Loop: Header=BB0_62 Depth=1
	s_delay_alu instid0(SALU_CYCLE_1) | instskip(SKIP_2) | instid1(VALU_DEP_1)
	s_or_b32 exec_lo, exec_lo, s7
	v_dual_mov_b32 v114, v0 :: v_dual_sub_nc_u32 v13, v58, v66
	s_mov_b32 s17, exec_lo
	v_cmpx_lt_i32_e32 0, v13
	s_cbranch_execz .LBB0_124
; %bb.99:                               ;   in Loop: Header=BB0_62 Depth=1
	v_dual_add_nc_u32 v15, 1, v102 :: v_dual_bitop2_b32 v14, 7, v102 bitop3:0x40
	v_add_nc_u64_e32 v[116:117], v[86:87], v[16:17]
	v_mov_b64_e32 v[118:119], 0
	v_dual_mov_b32 v57, v45 :: v_dual_mov_b32 v114, v0
	s_delay_alu instid0(VALU_DEP_4) | instskip(SKIP_1) | instid1(VALU_DEP_1)
	v_mul_lo_u32 v40, v14, s13
	s_mov_b32 s18, 0
	v_dual_add_nc_u32 v115, v44, v58 :: v_dual_ashrrev_i32 v41, 31, v40
	s_delay_alu instid0(VALU_DEP_1)
	v_lshl_add_u64 v[40:41], v[40:41], 4, v[96:97]
	s_branch .LBB0_101
.LBB0_100:                              ;   in Loop: Header=BB0_101 Depth=2
	v_dual_sub_nc_u32 v13, v13, v84 :: v_dual_add_nc_u32 v114, v114, v18
	v_add_nc_u64_e32 v[118:119], v[118:119], v[84:85]
	s_wait_xcnt 0x0
	v_add_nc_u64_e32 v[40:41], v[40:41], v[98:99]
	v_add_nc_u32_e32 v57, v57, v47
	v_cmp_gt_i32_e32 vcc_lo, 1, v13
	s_or_b32 s18, vcc_lo, s18
	s_delay_alu instid0(SALU_CYCLE_1)
	s_and_not1_b32 exec_lo, exec_lo, s18
	s_cbranch_execz .LBB0_123
.LBB0_101:                              ;   Parent Loop BB0_62 Depth=1
                                        ; =>  This Inner Loop Header: Depth=2
	v_add_nc_u64_e32 v[42:43], v[82:83], v[118:119]
	s_mov_b32 s7, exec_lo
	v_dual_mov_b32 v59, 0 :: v_dual_mov_b32 v60, 0
	s_delay_alu instid0(VALU_DEP_2)
	v_dual_mov_b32 v17, v43 :: v_dual_bitop2_b32 v16, -4, v42 bitop3:0x40
	v_min_u32_e32 v43, 8, v13
	v_and_b32_e32 v42, 3, v42
	global_load_b32 v14, v[16:17], off th:TH_LOAD_NT
	v_add_nc_u32_e32 v42, v42, v43
	s_wait_xcnt 0x0
	s_delay_alu instid0(VALU_DEP_1)
	v_cmpx_lt_u32_e32 4, v42
	s_cbranch_execz .LBB0_103
; %bb.102:                              ;   in Loop: Header=BB0_101 Depth=2
	global_load_b32 v60, v[16:17], off offset:4 th:TH_LOAD_NT
.LBB0_103:                              ;   in Loop: Header=BB0_101 Depth=2
	s_wait_xcnt 0x0
	s_or_b32 exec_lo, exec_lo, s7
	v_mov_b32_e32 v43, v12
	s_mov_b32 s7, exec_lo
	s_delay_alu instid0(VALU_DEP_1)
	v_cmpx_lt_u64_e32 8, v[42:43]
	s_cbranch_execz .LBB0_105
; %bb.104:                              ;   in Loop: Header=BB0_101 Depth=2
	global_load_b32 v59, v[16:17], off offset:8 th:TH_LOAD_NT
.LBB0_105:                              ;   in Loop: Header=BB0_101 Depth=2
	s_wait_xcnt 0x0
	s_or_b32 exec_lo, exec_lo, s7
	v_add_nc_u64_e32 v[42:43], v[116:117], v[118:119]
	v_cmp_lt_u32_e32 vcc_lo, 7, v13
	s_wait_loadcnt 0x0
	v_alignbit_b32 v14, v60, v14, v57
	v_alignbit_b32 v16, v59, v60, v57
	v_mov_b32_e32 v17, v15
	s_mov_b32 s7, -1
	s_cmp_lg_u32 vcc_lo, exec_lo
	global_store_b128 v[40:41], v[14:17], off
	s_cbranch_scc0 .LBB0_121
; %bb.106:                              ;   in Loop: Header=BB0_101 Depth=2
	s_mov_b32 s19, exec_lo
	flat_store_b8 v[42:43], v14
	s_wait_xcnt 0x0
	v_cmpx_ne_u32_e64 v115, v118
	s_cbranch_execz .LBB0_108
; %bb.107:                              ;   in Loop: Header=BB0_101 Depth=2
	v_lshrrev_b32_e32 v17, 8, v14
	flat_store_b8 v[42:43], v17 offset:1
.LBB0_108:                              ;   in Loop: Header=BB0_101 Depth=2
	s_wait_xcnt 0x0
	s_or_b32 exec_lo, exec_lo, s19
	s_delay_alu instid0(SALU_CYCLE_1)
	s_mov_b32 s19, exec_lo
	v_cmpx_lt_u32_e32 2, v13
	s_cbranch_execz .LBB0_110
; %bb.109:                              ;   in Loop: Header=BB0_101 Depth=2
	flat_store_d16_hi_b8 v[42:43], v14 offset:2
.LBB0_110:                              ;   in Loop: Header=BB0_101 Depth=2
	s_wait_xcnt 0x0
	s_or_b32 exec_lo, exec_lo, s19
	s_delay_alu instid0(SALU_CYCLE_1)
	s_mov_b32 s19, exec_lo
	v_cmpx_lt_u32_e32 3, v13
	s_cbranch_execz .LBB0_112
; %bb.111:                              ;   in Loop: Header=BB0_101 Depth=2
	v_lshrrev_b32_e32 v17, 24, v14
	flat_store_b8 v[42:43], v17 offset:3
.LBB0_112:                              ;   in Loop: Header=BB0_101 Depth=2
	s_wait_xcnt 0x0
	s_or_b32 exec_lo, exec_lo, s19
	s_delay_alu instid0(SALU_CYCLE_1)
	s_mov_b32 s19, exec_lo
	v_cmpx_lt_u32_e32 4, v13
	s_cbranch_execz .LBB0_114
; %bb.113:                              ;   in Loop: Header=BB0_101 Depth=2
	flat_store_b8 v[42:43], v16 offset:4
.LBB0_114:                              ;   in Loop: Header=BB0_101 Depth=2
	s_wait_xcnt 0x0
	s_or_b32 exec_lo, exec_lo, s19
	s_delay_alu instid0(SALU_CYCLE_1)
	s_mov_b32 s19, exec_lo
	v_cmpx_lt_u32_e32 5, v13
	s_cbranch_execz .LBB0_116
; %bb.115:                              ;   in Loop: Header=BB0_101 Depth=2
	v_lshrrev_b32_e32 v17, 8, v16
	flat_store_b8 v[42:43], v17 offset:5
.LBB0_116:                              ;   in Loop: Header=BB0_101 Depth=2
	s_wait_xcnt 0x0
	s_or_b32 exec_lo, exec_lo, s19
	s_delay_alu instid0(SALU_CYCLE_1)
	s_mov_b32 s19, exec_lo
	v_cmpx_lt_u32_e32 6, v13
	s_cbranch_execz .LBB0_118
; %bb.117:                              ;   in Loop: Header=BB0_101 Depth=2
	flat_store_d16_hi_b8 v[42:43], v16 offset:6
.LBB0_118:                              ;   in Loop: Header=BB0_101 Depth=2
	s_wait_xcnt 0x0
	s_or_b32 exec_lo, exec_lo, s19
	s_and_saveexec_b32 s7, vcc_lo
	s_cbranch_execz .LBB0_120
; %bb.119:                              ;   in Loop: Header=BB0_101 Depth=2
	v_lshrrev_b32_e32 v17, 24, v16
	flat_store_b8 v[42:43], v17 offset:7
.LBB0_120:                              ;   in Loop: Header=BB0_101 Depth=2
	s_wait_xcnt 0x0
	s_or_b32 exec_lo, exec_lo, s7
	s_mov_b32 s7, 0
.LBB0_121:                              ;   in Loop: Header=BB0_101 Depth=2
	s_delay_alu instid0(SALU_CYCLE_1)
	s_and_b32 vcc_lo, exec_lo, s7
	s_cbranch_vccz .LBB0_100
; %bb.122:                              ;   in Loop: Header=BB0_101 Depth=2
	v_dual_mov_b32 v60, v14 :: v_dual_mov_b32 v61, v16
	global_store_b64 v[42:43], v[60:61], off
	s_branch .LBB0_100
.LBB0_123:                              ;   in Loop: Header=BB0_62 Depth=1
	s_or_b32 exec_lo, exec_lo, s18
.LBB0_124:                              ;   in Loop: Header=BB0_62 Depth=1
	s_delay_alu instid0(SALU_CYCLE_1) | instskip(SKIP_3) | instid1(VALU_DEP_2)
	s_or_b32 exec_lo, exec_lo, s17
	v_and_b32_e32 v14, 0x7ffffff8, v102
	v_mov_b32_e32 v15, v12
	v_cmp_gt_i32_e64 s7, s13, v114
	v_cmp_eq_u64_e32 vcc_lo, 0x7ffffff8, v[14:15]
	s_and_b32 s17, vcc_lo, s7
	s_delay_alu instid0(SALU_CYCLE_1)
	s_and_saveexec_b32 s7, s17
	s_cbranch_execz .LBB0_127
; %bb.125:                              ;   in Loop: Header=BB0_62 Depth=1
	v_and_b32_e32 v13, 7, v102
	v_ashrrev_i32_e32 v115, 31, v114
	s_mov_b32 s17, 0
	s_delay_alu instid0(VALU_DEP_2) | instskip(SKIP_1) | instid1(VALU_DEP_2)
	v_mul_lo_u32 v14, v13, s13
	v_add_nc_u32_e32 v13, 1, v102
	v_ashrrev_i32_e32 v15, 31, v14
	s_delay_alu instid0(VALU_DEP_1) | instskip(NEXT) | instid1(VALU_DEP_1)
	v_lshlrev_b64_e32 v[14:15], 4, v[14:15]
	v_lshl_add_u64 v[14:15], v[114:115], 4, v[14:15]
	s_delay_alu instid0(VALU_DEP_1)
	v_add_nc_u64_e32 v[16:17], v[36:37], v[14:15]
.LBB0_126:                              ;   Parent Loop BB0_62 Depth=1
                                        ; =>  This Inner Loop Header: Depth=2
	v_dual_mov_b32 v14, v12 :: v_dual_add_nc_u32 v114, v114, v18
	v_mov_b32_e32 v15, v13
	s_delay_alu instid0(VALU_DEP_2) | instskip(SKIP_4) | instid1(SALU_CYCLE_1)
	v_cmp_le_i32_e32 vcc_lo, s13, v114
	global_store_b128 v[16:17], v[12:15], off
	s_wait_xcnt 0x0
	v_add_nc_u64_e32 v[16:17], v[16:17], v[98:99]
	s_or_b32 s17, vcc_lo, s17
	s_and_not1_b32 exec_lo, exec_lo, s17
	s_cbranch_execnz .LBB0_126
.LBB0_127:                              ;   in Loop: Header=BB0_62 Depth=1
	s_or_b32 exec_lo, exec_lo, s7
.LBB0_128:                              ;   in Loop: Header=BB0_62 Depth=1
	s_and_not1_saveexec_b32 s8, s8
	s_cbranch_execz .LBB0_176
; %bb.129:                              ;   in Loop: Header=BB0_62 Depth=1
	s_and_saveexec_b32 s17, s1
	s_cbranch_execz .LBB0_145
; %bb.130:                              ;   in Loop: Header=BB0_62 Depth=1
	v_add_nc_u64_e32 v[14:15], 1, v[4:5]
	s_wait_loadcnt_dscnt 0x0
	v_add_nc_u64_e32 v[16:17], 8, v[64:65]
	s_mov_b32 s18, exec_lo
	s_delay_alu instid0(VALU_DEP_1)
	v_cmpx_lt_u64_e64 v[16:17], v[14:15]
	s_cbranch_execz .LBB0_142
; %bb.131:                              ;   in Loop: Header=BB0_62 Depth=1
	s_mov_b32 s19, 0
	s_mov_b32 s23, 0
	v_cmp_eq_u32_e32 vcc_lo, 0, v19
                                        ; implicit-def: $sgpr20
                                        ; implicit-def: $sgpr21
                                        ; implicit-def: $sgpr22
	s_branch .LBB0_134
.LBB0_132:                              ;   in Loop: Header=BB0_134 Depth=2
	s_or_b32 exec_lo, exec_lo, s28
	v_mov_b32_e32 v13, 0
	s_and_not1_b32 s7, s22, exec_lo
	s_and_b32 s22, s26, exec_lo
	s_and_not1_b32 s21, s21, exec_lo
	s_and_b32 s25, s25, exec_lo
	s_or_b32 s22, s7, s22
	s_or_b32 s21, s21, s25
.LBB0_133:                              ;   in Loop: Header=BB0_134 Depth=2
	s_or_b32 exec_lo, exec_lo, s24
	s_delay_alu instid0(SALU_CYCLE_1) | instskip(NEXT) | instid1(SALU_CYCLE_1)
	s_and_b32 s7, exec_lo, s21
	s_or_b32 s19, s7, s19
	s_and_not1_b32 s7, s20, exec_lo
	s_and_b32 s20, s22, exec_lo
	s_delay_alu instid0(SALU_CYCLE_1)
	s_or_b32 s20, s7, s20
	s_and_not1_b32 exec_lo, exec_lo, s19
	s_cbranch_execz .LBB0_139
.LBB0_134:                              ;   Parent Loop BB0_62 Depth=1
                                        ; =>  This Inner Loop Header: Depth=2
	s_sleep 1
	s_wait_loadcnt_dscnt 0x0
	flat_load_b64 v[64:65], v[50:51] scope:SCOPE_DEV
	v_mov_b32_e32 v13, v19
	s_or_b32 s22, s22, exec_lo
	s_or_b32 s21, s21, exec_lo
                                        ; implicit-def: $vgpr5
	s_wait_xcnt 0x0
	s_and_saveexec_b32 s24, vcc_lo
	s_cbranch_execz .LBB0_133
; %bb.135:                              ;   in Loop: Header=BB0_134 Depth=2
	s_add_co_i32 s23, s23, 1
	s_mov_b32 s25, -1
	s_cmp_lg_u32 s23, 0x2710
	s_mov_b32 s26, -1
	s_cselect_b32 s27, -1, 0
	s_cmp_eq_u32 s23, 0x2710
                                        ; implicit-def: $vgpr5
	s_cbranch_scc1 .LBB0_137
; %bb.136:                              ;   in Loop: Header=BB0_134 Depth=2
	s_and_saveexec_b32 s28, s27
	s_cbranch_execz .LBB0_132
	s_branch .LBB0_138
.LBB0_137:                              ;   in Loop: Header=BB0_134 Depth=2
	s_trap 2
	ds_load_b64 v[16:17], v0
	s_and_not1_b32 s23, s27, exec_lo
	s_mov_b32 s26, 0
	s_wait_storecnt 0x0
	s_wait_loadcnt_dscnt 0x0
	flat_load_b32 v5, v[16:17] scope:SCOPE_SYS
	s_wait_loadcnt_dscnt 0x0
	global_inv scope:SCOPE_SYS
	v_cmp_eq_u32_e64 s7, 0, v5
	s_and_b32 s7, s7, exec_lo
	s_delay_alu instid0(SALU_CYCLE_1)
	s_or_b32 s27, s23, s7
	s_mov_b32 s23, 0
	s_and_saveexec_b32 s28, s27
	s_cbranch_execz .LBB0_132
.LBB0_138:                              ;   in Loop: Header=BB0_134 Depth=2
	s_wait_loadcnt_dscnt 0x0
	v_add_nc_u64_e32 v[16:17], 8, v[64:65]
	s_or_b32 s26, s26, exec_lo
	s_delay_alu instid0(VALU_DEP_1)
	v_cmp_ge_u64_e64 s7, v[16:17], v[14:15]
	s_or_not1_b32 s25, s7, exec_lo
	s_branch .LBB0_132
.LBB0_139:                              ;   in Loop: Header=BB0_62 Depth=1
	s_or_b32 exec_lo, exec_lo, s19
	s_xor_b32 s7, s20, -1
	s_delay_alu instid0(SALU_CYCLE_1) | instskip(NEXT) | instid1(SALU_CYCLE_1)
	s_and_saveexec_b32 s19, s7
	s_xor_b32 s7, exec_lo, s19
	s_cbranch_execz .LBB0_141
; %bb.140:                              ;   in Loop: Header=BB0_62 Depth=1
	v_mov_b32_e32 v13, 1
	s_wait_storecnt 0x0
	s_wait_loadcnt_dscnt 0x0
	ds_store_b32 v0, v5
	s_trap 2
.LBB0_141:                              ;   in Loop: Header=BB0_62 Depth=1
	s_or_b32 exec_lo, exec_lo, s7
	v_mov_b32_e32 v19, v13
.LBB0_142:                              ;   in Loop: Header=BB0_62 Depth=1
	s_or_b32 exec_lo, exec_lo, s18
	s_and_saveexec_b32 s7, s2
	s_cbranch_execz .LBB0_144
; %bb.143:                              ;   in Loop: Header=BB0_62 Depth=1
	v_and_b32_e32 v16, 0x7ffffff8, v4
	v_dual_mov_b32 v17, v12 :: v_dual_bitop2_b32 v4, 7, v4 bitop3:0x40
	s_delay_alu instid0(VALU_DEP_1) | instskip(NEXT) | instid1(VALU_DEP_2)
	v_cmp_eq_u64_e32 vcc_lo, 0x7ffffff8, v[16:17]
	v_mad_nc_u64_u32 v[4:5], v4, 24, v[2:3]
	v_cndmask_b32_e64 v13, v56, s13, vcc_lo
	s_delay_alu instid0(VALU_DEP_1) | instskip(NEXT) | instid1(VALU_DEP_1)
	v_lshlrev_b32_e32 v16, 4, v13
	v_ashrrev_i32_e32 v17, 31, v16
	flat_store_b64 v[4:5], v[16:17] offset:8 scope:SCOPE_SYS
	s_wait_storecnt 0x0
.LBB0_144:                              ;   in Loop: Header=BB0_62 Depth=1
	s_wait_xcnt 0x0
	s_or_b32 exec_lo, exec_lo, s7
	v_mov_b64_e32 v[4:5], v[14:15]
.LBB0_145:                              ;   in Loop: Header=BB0_62 Depth=1
	s_or_b32 exec_lo, exec_lo, s17
	s_and_saveexec_b32 s7, s3
	s_cbranch_execz .LBB0_164
; %bb.146:                              ;   in Loop: Header=BB0_62 Depth=1
	s_and_saveexec_b32 s17, s4
	s_delay_alu instid0(SALU_CYCLE_1)
	s_xor_b32 s17, exec_lo, s17
	s_cbranch_execz .LBB0_161
; %bb.147:                              ;   in Loop: Header=BB0_62 Depth=1
	s_and_saveexec_b32 s18, s5
	s_cbranch_execz .LBB0_160
; %bb.148:                              ;   in Loop: Header=BB0_62 Depth=1
	s_mov_b32 s20, exec_lo
	s_mov_b32 s19, exec_lo
	v_mbcnt_lo_u32_b32 v13, s20, 0
	global_wb scope:SCOPE_DEV
	s_wait_storecnt 0x0
	s_wait_loadcnt_dscnt 0x0
	global_inv scope:SCOPE_DEV
	v_cmpx_eq_u32_e32 0, v13
	s_cbranch_execz .LBB0_150
; %bb.149:                              ;   in Loop: Header=BB0_62 Depth=1
	s_bcnt1_i32_b32 s20, s20
	s_delay_alu instid0(SALU_CYCLE_1)
	v_dual_mov_b32 v15, v12 :: v_dual_mov_b32 v14, s20
	s_wait_loadcnt 0x0
	ds_add_u64 v0, v[14:15]
	s_trap 2
.LBB0_150:                              ;   in Loop: Header=BB0_62 Depth=1
	s_or_b32 exec_lo, exec_lo, s19
	s_trap 2
	ds_load_b64 v[14:15], v0
	s_wait_dscnt 0x0
	v_add_nc_u64_e32 v[52:53], v[52:53], v[80:81]
	s_mov_b32 s19, exec_lo
	s_delay_alu instid0(VALU_DEP_1)
	v_cmpx_lt_u64_e64 v[14:15], v[52:53]
	s_cbranch_execz .LBB0_159
; %bb.151:                              ;   in Loop: Header=BB0_62 Depth=1
	s_mov_b32 s20, 0
	s_mov_b32 s23, 0
                                        ; implicit-def: $sgpr21
                                        ; implicit-def: $sgpr22
	s_branch .LBB0_153
.LBB0_152:                              ;   in Loop: Header=BB0_153 Depth=2
	s_or_b32 exec_lo, exec_lo, s25
	s_delay_alu instid0(SALU_CYCLE_1) | instskip(NEXT) | instid1(SALU_CYCLE_1)
	s_and_b32 s24, exec_lo, s26
	s_or_b32 s20, s24, s20
	s_and_not1_b32 s21, s21, exec_lo
	s_and_b32 s24, s22, exec_lo
	s_delay_alu instid0(SALU_CYCLE_1)
	s_or_b32 s21, s21, s24
	s_and_not1_b32 exec_lo, exec_lo, s20
	s_cbranch_execz .LBB0_157
.LBB0_153:                              ;   Parent Loop BB0_62 Depth=1
                                        ; =>  This Inner Loop Header: Depth=2
	s_add_co_i32 s23, s23, 1
	s_delay_alu instid0(SALU_CYCLE_1) | instskip(SKIP_1) | instid1(SALU_CYCLE_1)
	s_cmp_lg_u32 s23, 0x2710
	s_cselect_b32 s24, -1, 0
	s_and_b32 vcc_lo, exec_lo, s24
	s_cbranch_vccz .LBB0_155
; %bb.154:                              ;   in Loop: Header=BB0_153 Depth=2
	s_mov_b32 s26, -1
	s_or_b32 s22, s22, exec_lo
	s_and_saveexec_b32 s25, s24
	s_cbranch_execz .LBB0_152
	s_branch .LBB0_156
.LBB0_155:                              ;   in Loop: Header=BB0_153 Depth=2
	s_trap 2
	ds_load_b64 v[14:15], v0
	s_and_not1_b32 s24, s24, exec_lo
	s_mov_b32 s23, 0
	s_wait_loadcnt_dscnt 0x0
	flat_load_b32 v13, v[14:15] scope:SCOPE_SYS
	s_wait_loadcnt_dscnt 0x0
	global_inv scope:SCOPE_SYS
	v_cmp_eq_u32_e32 vcc_lo, 0, v13
	s_and_b32 s25, vcc_lo, exec_lo
	s_delay_alu instid0(SALU_CYCLE_1)
	s_or_b32 s24, s24, s25
	s_mov_b32 s26, -1
	s_or_b32 s22, s22, exec_lo
	s_and_saveexec_b32 s25, s24
	s_cbranch_execz .LBB0_152
.LBB0_156:                              ;   in Loop: Header=BB0_153 Depth=2
	s_sleep 1
	s_trap 2
	ds_load_b64 v[14:15], v0
	s_wait_dscnt 0x0
	s_and_not1_b32 s22, s22, exec_lo
	v_cmp_ge_u64_e32 vcc_lo, v[14:15], v[52:53]
	s_or_not1_b32 s26, vcc_lo, exec_lo
	s_branch .LBB0_152
.LBB0_157:                              ;   in Loop: Header=BB0_62 Depth=1
	s_or_b32 exec_lo, exec_lo, s20
	s_and_saveexec_b32 s20, s21
	s_delay_alu instid0(SALU_CYCLE_1)
	s_xor_b32 s20, exec_lo, s20
	s_cbranch_execz .LBB0_159
; %bb.158:                              ;   in Loop: Header=BB0_62 Depth=1
	ds_store_b32 v0, v1
	s_trap 2
.LBB0_159:                              ;   in Loop: Header=BB0_62 Depth=1
	s_or_b32 exec_lo, exec_lo, s19
	;;#ASMSTART
	s_wakeup
	;;#ASMEND
.LBB0_160:                              ;   in Loop: Header=BB0_62 Depth=1
	s_or_b32 exec_lo, exec_lo, s18
.LBB0_161:                              ;   in Loop: Header=BB0_62 Depth=1
	s_and_not1_saveexec_b32 s17, s17
	s_cbranch_execz .LBB0_163
; %bb.162:                              ;   in Loop: Header=BB0_62 Depth=1
	global_wb scope:SCOPE_DEV
	s_wait_storecnt 0x0
	s_wait_loadcnt_dscnt 0x0
	global_inv scope:SCOPE_DEV
	s_barrier_signal -1
	s_barrier_wait -1
.LBB0_163:                              ;   in Loop: Header=BB0_62 Depth=1
	s_or_b32 exec_lo, exec_lo, s17
.LBB0_164:                              ;   in Loop: Header=BB0_62 Depth=1
	s_delay_alu instid0(SALU_CYCLE_1) | instskip(SKIP_3) | instid1(VALU_DEP_2)
	s_or_b32 exec_lo, exec_lo, s7
	v_dual_mov_b32 v114, v0 :: v_dual_sub_nc_u32 v115, v58, v66
	v_dual_add_nc_u32 v15, 1, v102 :: v_dual_bitop2_b32 v13, 7, v102 bitop3:0x40
	s_mov_b32 s7, exec_lo
	v_cmpx_lt_i32_e32 0, v115
	s_cbranch_execz .LBB0_172
; %bb.165:                              ;   in Loop: Header=BB0_62 Depth=1
	s_delay_alu instid0(VALU_DEP_2) | instskip(SKIP_3) | instid1(VALU_DEP_3)
	v_mul_lo_u32 v16, v13, s13
	v_mov_b64_e32 v[116:117], v[82:83]
	v_mov_b32_e32 v114, v0
	s_mov_b32 s17, 0
	v_dual_mov_b32 v42, v45 :: v_dual_ashrrev_i32 v17, 31, v16
	s_delay_alu instid0(VALU_DEP_1)
	v_lshl_add_u64 v[118:119], v[16:17], 4, v[96:97]
	s_branch .LBB0_167
.LBB0_166:                              ;   in Loop: Header=BB0_167 Depth=2
	s_wait_xcnt 0x0
	s_or_b32 exec_lo, exec_lo, s18
	s_wait_loadcnt 0x0
	v_alignbit_b32 v14, v57, v14, v42
	v_alignbit_b32 v16, v43, v57, v42
	v_dual_mov_b32 v17, v15 :: v_dual_add_nc_u32 v114, v114, v18
	v_dual_sub_nc_u32 v115, v115, v84 :: v_dual_add_nc_u32 v42, v42, v47
	v_add_nc_u64_e32 v[116:117], v[116:117], v[84:85]
	global_store_b128 v[118:119], v[14:17], off
	s_wait_xcnt 0x0
	v_add_nc_u64_e32 v[118:119], v[118:119], v[98:99]
	v_cmp_gt_i32_e32 vcc_lo, 1, v115
	s_or_b32 s17, vcc_lo, s17
	s_delay_alu instid0(SALU_CYCLE_1)
	s_and_not1_b32 exec_lo, exec_lo, s17
	s_cbranch_execz .LBB0_171
.LBB0_167:                              ;   Parent Loop BB0_62 Depth=1
                                        ; =>  This Inner Loop Header: Depth=2
	s_delay_alu instid0(VALU_DEP_4)
	v_dual_mov_b32 v17, v117 :: v_dual_bitop2_b32 v16, -4, v116 bitop3:0x40
	v_min_u32_e32 v40, 8, v115
	v_dual_mov_b32 v43, 0 :: v_dual_bitop2_b32 v41, 3, v116 bitop3:0x40
	v_mov_b32_e32 v57, 0
	global_load_b32 v14, v[16:17], off th:TH_LOAD_NT
	s_mov_b32 s18, exec_lo
	v_add_nc_u32_e32 v40, v41, v40
	s_wait_xcnt 0x0
	s_delay_alu instid0(VALU_DEP_1)
	v_cmpx_lt_u32_e32 4, v40
	s_cbranch_execz .LBB0_169
; %bb.168:                              ;   in Loop: Header=BB0_167 Depth=2
	global_load_b32 v57, v[16:17], off offset:4 th:TH_LOAD_NT
.LBB0_169:                              ;   in Loop: Header=BB0_167 Depth=2
	s_wait_xcnt 0x0
	s_or_b32 exec_lo, exec_lo, s18
	v_mov_b32_e32 v41, v12
	s_mov_b32 s18, exec_lo
	s_delay_alu instid0(VALU_DEP_1)
	v_cmpx_lt_u64_e32 8, v[40:41]
	s_cbranch_execz .LBB0_166
; %bb.170:                              ;   in Loop: Header=BB0_167 Depth=2
	global_load_b32 v43, v[16:17], off offset:8 th:TH_LOAD_NT
	s_branch .LBB0_166
.LBB0_171:                              ;   in Loop: Header=BB0_62 Depth=1
	s_or_b32 exec_lo, exec_lo, s17
.LBB0_172:                              ;   in Loop: Header=BB0_62 Depth=1
	s_delay_alu instid0(SALU_CYCLE_1) | instskip(SKIP_3) | instid1(VALU_DEP_2)
	s_or_b32 exec_lo, exec_lo, s7
	v_and_b32_e32 v16, 0x7ffffff8, v102
	v_mov_b32_e32 v17, v12
	v_cmp_gt_i32_e64 s7, s13, v114
	v_cmp_eq_u64_e32 vcc_lo, 0x7ffffff8, v[16:17]
	s_and_b32 s17, vcc_lo, s7
	s_delay_alu instid0(SALU_CYCLE_1)
	s_and_saveexec_b32 s7, s17
	s_cbranch_execz .LBB0_175
; %bb.173:                              ;   in Loop: Header=BB0_62 Depth=1
	v_mul_lo_u32 v16, v13, s13
	v_mov_b32_e32 v13, v15
	s_mov_b32 s17, 0
	s_delay_alu instid0(VALU_DEP_2) | instskip(NEXT) | instid1(VALU_DEP_1)
	v_dual_ashrrev_i32 v115, 31, v114 :: v_dual_ashrrev_i32 v17, 31, v16
	v_lshlrev_b64_e32 v[16:17], 4, v[16:17]
	s_delay_alu instid0(VALU_DEP_1) | instskip(NEXT) | instid1(VALU_DEP_1)
	v_lshl_add_u64 v[16:17], v[114:115], 4, v[16:17]
	v_add_nc_u64_e32 v[16:17], v[36:37], v[16:17]
.LBB0_174:                              ;   Parent Loop BB0_62 Depth=1
                                        ; =>  This Inner Loop Header: Depth=2
	v_dual_mov_b32 v14, v12 :: v_dual_add_nc_u32 v114, v114, v18
	v_mov_b32_e32 v15, v13
	s_delay_alu instid0(VALU_DEP_2) | instskip(SKIP_4) | instid1(SALU_CYCLE_1)
	v_cmp_le_i32_e32 vcc_lo, s13, v114
	global_store_b128 v[16:17], v[12:15], off
	s_wait_xcnt 0x0
	v_add_nc_u64_e32 v[16:17], v[16:17], v[98:99]
	s_or_b32 s17, vcc_lo, s17
	s_and_not1_b32 exec_lo, exec_lo, s17
	s_cbranch_execnz .LBB0_174
.LBB0_175:                              ;   in Loop: Header=BB0_62 Depth=1
	s_or_b32 exec_lo, exec_lo, s7
.LBB0_176:                              ;   in Loop: Header=BB0_62 Depth=1
	s_delay_alu instid0(SALU_CYCLE_1)
	s_or_b32 exec_lo, exec_lo, s8
	v_sub_nc_u32_e32 v57, v58, v66
	s_and_not1_b32 vcc_lo, exec_lo, s15
	s_mov_b32 s7, -1
                                        ; implicit-def: $vgpr13
	s_cbranch_vccnz .LBB0_178
; %bb.177:                              ;   in Loop: Header=BB0_62 Depth=1
	v_sub_nc_u32_e32 v13, v58, v66
	s_mov_b32 s7, 0
.LBB0_178:                              ;   in Loop: Header=BB0_62 Depth=1
	v_add_nc_u64_e32 v[114:115], 1, v[102:103]
	s_and_not1_b32 vcc_lo, exec_lo, s7
	s_cbranch_vccnz .LBB0_275
; %bb.179:                              ;   in Loop: Header=BB0_62 Depth=1
	v_add_nc_u64_e32 v[14:15], v[8:9], v[66:67]
	v_cmp_lt_i32_e64 s7, 0, v57
	v_add_nc_u16 v58, v102, 1
	s_mov_b32 s17, 1
	v_add_nc_u64_e32 v[112:113], v[14:15], v[112:113]
.LBB0_180:                              ;   Parent Loop BB0_62 Depth=1
                                        ; =>  This Loop Header: Depth=2
                                        ;       Child Loop BB0_185 Depth 3
                                        ;       Child Loop BB0_204 Depth 3
	;; [unrolled: 1-line block ×3, first 2 shown]
                                        ;         Child Loop BB0_230 Depth 4
                                        ;       Child Loop BB0_264 Depth 3
                                        ;       Child Loop BB0_221 Depth 3
	s_sub_co_i32 s8, s10, s17
	v_readfirstlane_b32 s18, v22
	v_mov_b32_e32 v13, s8
	v_readfirstlane_b32 s19, v23
	s_wait_loadcnt_dscnt 0x0
	flat_load_b32 v16, v13, s[18:19] scale_offset
	s_wait_xcnt 0x0
	s_and_saveexec_b32 s18, s1
	s_cbranch_execz .LBB0_196
; %bb.181:                              ;   in Loop: Header=BB0_180 Depth=2
	v_add_nc_u64_e32 v[14:15], 1, v[4:5]
	s_wait_loadcnt_dscnt 0x101
	v_add_nc_u64_e32 v[102:103], 8, v[64:65]
	s_mov_b32 s19, exec_lo
	s_delay_alu instid0(VALU_DEP_1)
	v_cmpx_lt_u64_e64 v[102:103], v[14:15]
	s_cbranch_execz .LBB0_193
; %bb.182:                              ;   in Loop: Header=BB0_180 Depth=2
	s_mov_b32 s20, 0
	s_mov_b32 s24, 0
	v_cmp_eq_u32_e32 vcc_lo, 0, v19
                                        ; implicit-def: $sgpr21
                                        ; implicit-def: $sgpr22
                                        ; implicit-def: $sgpr23
	s_branch .LBB0_185
.LBB0_183:                              ;   in Loop: Header=BB0_185 Depth=3
	s_or_b32 exec_lo, exec_lo, s29
	v_mov_b32_e32 v13, 0
	s_and_not1_b32 s8, s23, exec_lo
	s_and_b32 s23, s27, exec_lo
	s_and_not1_b32 s22, s22, exec_lo
	s_and_b32 s26, s26, exec_lo
	s_or_b32 s23, s8, s23
	s_or_b32 s22, s22, s26
.LBB0_184:                              ;   in Loop: Header=BB0_185 Depth=3
	s_or_b32 exec_lo, exec_lo, s25
	s_delay_alu instid0(SALU_CYCLE_1) | instskip(NEXT) | instid1(SALU_CYCLE_1)
	s_and_b32 s8, exec_lo, s22
	s_or_b32 s20, s8, s20
	s_and_not1_b32 s8, s21, exec_lo
	s_and_b32 s21, s23, exec_lo
	s_delay_alu instid0(SALU_CYCLE_1)
	s_or_b32 s21, s8, s21
	s_and_not1_b32 exec_lo, exec_lo, s20
	s_cbranch_execz .LBB0_190
.LBB0_185:                              ;   Parent Loop BB0_62 Depth=1
                                        ;     Parent Loop BB0_180 Depth=2
                                        ; =>    This Inner Loop Header: Depth=3
	s_sleep 1
	s_wait_loadcnt_dscnt 0x0
	flat_load_b64 v[64:65], v[50:51] scope:SCOPE_DEV
	v_mov_b32_e32 v13, v19
	s_or_b32 s23, s23, exec_lo
	s_or_b32 s22, s22, exec_lo
                                        ; implicit-def: $vgpr5
	s_wait_xcnt 0x0
	s_and_saveexec_b32 s25, vcc_lo
	s_cbranch_execz .LBB0_184
; %bb.186:                              ;   in Loop: Header=BB0_185 Depth=3
	s_add_co_i32 s24, s24, 1
	s_mov_b32 s26, -1
	s_cmp_lg_u32 s24, 0x2710
	s_mov_b32 s27, -1
	s_cselect_b32 s28, -1, 0
	s_cmp_eq_u32 s24, 0x2710
                                        ; implicit-def: $vgpr5
	s_cbranch_scc1 .LBB0_188
; %bb.187:                              ;   in Loop: Header=BB0_185 Depth=3
	s_and_saveexec_b32 s29, s28
	s_cbranch_execz .LBB0_183
	s_branch .LBB0_189
.LBB0_188:                              ;   in Loop: Header=BB0_185 Depth=3
	s_trap 2
	ds_load_b64 v[102:103], v0
	s_and_not1_b32 s24, s28, exec_lo
	s_mov_b32 s27, 0
	s_wait_storecnt 0x0
	s_wait_loadcnt_dscnt 0x0
	flat_load_b32 v5, v[102:103] scope:SCOPE_SYS
	s_wait_loadcnt_dscnt 0x0
	global_inv scope:SCOPE_SYS
	v_cmp_eq_u32_e64 s8, 0, v5
	s_and_b32 s8, s8, exec_lo
	s_delay_alu instid0(SALU_CYCLE_1)
	s_or_b32 s28, s24, s8
	s_mov_b32 s24, 0
	s_and_saveexec_b32 s29, s28
	s_cbranch_execz .LBB0_183
.LBB0_189:                              ;   in Loop: Header=BB0_185 Depth=3
	s_wait_loadcnt_dscnt 0x0
	v_add_nc_u64_e32 v[102:103], 8, v[64:65]
	s_or_b32 s27, s27, exec_lo
	s_delay_alu instid0(VALU_DEP_1)
	v_cmp_ge_u64_e64 s8, v[102:103], v[14:15]
	s_or_not1_b32 s26, s8, exec_lo
	s_branch .LBB0_183
.LBB0_190:                              ;   in Loop: Header=BB0_180 Depth=2
	s_or_b32 exec_lo, exec_lo, s20
	s_xor_b32 s8, s21, -1
	s_delay_alu instid0(SALU_CYCLE_1) | instskip(NEXT) | instid1(SALU_CYCLE_1)
	s_and_saveexec_b32 s20, s8
	s_xor_b32 s8, exec_lo, s20
	s_cbranch_execz .LBB0_192
; %bb.191:                              ;   in Loop: Header=BB0_180 Depth=2
	v_mov_b32_e32 v13, 1
	s_wait_storecnt 0x0
	s_wait_loadcnt_dscnt 0x0
	ds_store_b32 v0, v5
	s_trap 2
.LBB0_192:                              ;   in Loop: Header=BB0_180 Depth=2
	s_or_b32 exec_lo, exec_lo, s8
	v_mov_b32_e32 v19, v13
.LBB0_193:                              ;   in Loop: Header=BB0_180 Depth=2
	s_or_b32 exec_lo, exec_lo, s19
	s_and_saveexec_b32 s8, s2
	s_cbranch_execz .LBB0_195
; %bb.194:                              ;   in Loop: Header=BB0_180 Depth=2
	v_and_b32_e32 v102, 0x7ffffff8, v4
	v_dual_mov_b32 v103, v12 :: v_dual_bitop2_b32 v4, 7, v4 bitop3:0x40
	s_delay_alu instid0(VALU_DEP_1) | instskip(NEXT) | instid1(VALU_DEP_2)
	v_cmp_eq_u64_e32 vcc_lo, 0x7ffffff8, v[102:103]
	v_mad_nc_u64_u32 v[4:5], v4, 24, v[2:3]
	v_cndmask_b32_e64 v13, v56, s13, vcc_lo
	s_delay_alu instid0(VALU_DEP_1) | instskip(NEXT) | instid1(VALU_DEP_1)
	v_lshlrev_b32_e32 v102, 4, v13
	v_ashrrev_i32_e32 v103, 31, v102
	flat_store_b64 v[4:5], v[102:103] offset:8 scope:SCOPE_SYS
	s_wait_storecnt 0x0
.LBB0_195:                              ;   in Loop: Header=BB0_180 Depth=2
	s_wait_xcnt 0x0
	s_or_b32 exec_lo, exec_lo, s8
	v_mov_b64_e32 v[4:5], v[14:15]
.LBB0_196:                              ;   in Loop: Header=BB0_180 Depth=2
	s_or_b32 exec_lo, exec_lo, s18
	s_and_saveexec_b32 s8, s3
	s_cbranch_execz .LBB0_215
; %bb.197:                              ;   in Loop: Header=BB0_180 Depth=2
	s_and_saveexec_b32 s18, s4
	s_delay_alu instid0(SALU_CYCLE_1)
	s_xor_b32 s18, exec_lo, s18
	s_cbranch_execz .LBB0_212
; %bb.198:                              ;   in Loop: Header=BB0_180 Depth=2
	s_and_saveexec_b32 s19, s5
	s_cbranch_execz .LBB0_211
; %bb.199:                              ;   in Loop: Header=BB0_180 Depth=2
	s_mov_b32 s21, exec_lo
	s_mov_b32 s20, exec_lo
	v_mbcnt_lo_u32_b32 v13, s21, 0
	global_wb scope:SCOPE_DEV
	s_wait_storecnt 0x0
	s_wait_loadcnt_dscnt 0x0
	global_inv scope:SCOPE_DEV
	v_cmpx_eq_u32_e32 0, v13
	s_cbranch_execz .LBB0_201
; %bb.200:                              ;   in Loop: Header=BB0_180 Depth=2
	s_bcnt1_i32_b32 s21, s21
	s_delay_alu instid0(SALU_CYCLE_1)
	v_dual_mov_b32 v15, v12 :: v_dual_mov_b32 v14, s21
	s_wait_loadcnt 0x0
	ds_add_u64 v0, v[14:15]
	s_trap 2
.LBB0_201:                              ;   in Loop: Header=BB0_180 Depth=2
	s_or_b32 exec_lo, exec_lo, s20
	s_trap 2
	ds_load_b64 v[14:15], v0
	s_wait_dscnt 0x0
	v_add_nc_u64_e32 v[52:53], v[52:53], v[80:81]
	s_mov_b32 s20, exec_lo
	s_delay_alu instid0(VALU_DEP_1)
	v_cmpx_lt_u64_e64 v[14:15], v[52:53]
	s_cbranch_execz .LBB0_210
; %bb.202:                              ;   in Loop: Header=BB0_180 Depth=2
	s_mov_b32 s21, 0
	s_mov_b32 s24, 0
                                        ; implicit-def: $sgpr22
                                        ; implicit-def: $sgpr23
	s_branch .LBB0_204
.LBB0_203:                              ;   in Loop: Header=BB0_204 Depth=3
	s_or_b32 exec_lo, exec_lo, s26
	s_delay_alu instid0(SALU_CYCLE_1) | instskip(NEXT) | instid1(SALU_CYCLE_1)
	s_and_b32 s25, exec_lo, s27
	s_or_b32 s21, s25, s21
	s_and_not1_b32 s22, s22, exec_lo
	s_and_b32 s25, s23, exec_lo
	s_delay_alu instid0(SALU_CYCLE_1)
	s_or_b32 s22, s22, s25
	s_and_not1_b32 exec_lo, exec_lo, s21
	s_cbranch_execz .LBB0_208
.LBB0_204:                              ;   Parent Loop BB0_62 Depth=1
                                        ;     Parent Loop BB0_180 Depth=2
                                        ; =>    This Inner Loop Header: Depth=3
	s_add_co_i32 s24, s24, 1
	s_delay_alu instid0(SALU_CYCLE_1) | instskip(SKIP_1) | instid1(SALU_CYCLE_1)
	s_cmp_lg_u32 s24, 0x2710
	s_cselect_b32 s25, -1, 0
	s_and_b32 vcc_lo, exec_lo, s25
	s_cbranch_vccz .LBB0_206
; %bb.205:                              ;   in Loop: Header=BB0_204 Depth=3
	s_mov_b32 s27, -1
	s_or_b32 s23, s23, exec_lo
	s_and_saveexec_b32 s26, s25
	s_cbranch_execz .LBB0_203
	s_branch .LBB0_207
.LBB0_206:                              ;   in Loop: Header=BB0_204 Depth=3
	s_trap 2
	ds_load_b64 v[14:15], v0
	s_and_not1_b32 s25, s25, exec_lo
	s_mov_b32 s24, 0
	s_wait_loadcnt_dscnt 0x0
	flat_load_b32 v13, v[14:15] scope:SCOPE_SYS
	s_wait_loadcnt_dscnt 0x0
	global_inv scope:SCOPE_SYS
	v_cmp_eq_u32_e32 vcc_lo, 0, v13
	s_and_b32 s26, vcc_lo, exec_lo
	s_delay_alu instid0(SALU_CYCLE_1)
	s_or_b32 s25, s25, s26
	s_mov_b32 s27, -1
	s_or_b32 s23, s23, exec_lo
	s_and_saveexec_b32 s26, s25
	s_cbranch_execz .LBB0_203
.LBB0_207:                              ;   in Loop: Header=BB0_204 Depth=3
	s_sleep 1
	s_trap 2
	ds_load_b64 v[14:15], v0
	s_wait_dscnt 0x0
	s_and_not1_b32 s23, s23, exec_lo
	v_cmp_ge_u64_e32 vcc_lo, v[14:15], v[52:53]
	s_or_not1_b32 s27, vcc_lo, exec_lo
	s_branch .LBB0_203
.LBB0_208:                              ;   in Loop: Header=BB0_180 Depth=2
	s_or_b32 exec_lo, exec_lo, s21
	s_and_saveexec_b32 s21, s22
	s_delay_alu instid0(SALU_CYCLE_1)
	s_xor_b32 s21, exec_lo, s21
	s_cbranch_execz .LBB0_210
; %bb.209:                              ;   in Loop: Header=BB0_180 Depth=2
	ds_store_b32 v0, v1
	s_trap 2
.LBB0_210:                              ;   in Loop: Header=BB0_180 Depth=2
	s_or_b32 exec_lo, exec_lo, s20
	;;#ASMSTART
	s_wakeup
	;;#ASMEND
.LBB0_211:                              ;   in Loop: Header=BB0_180 Depth=2
	s_or_b32 exec_lo, exec_lo, s19
.LBB0_212:                              ;   in Loop: Header=BB0_180 Depth=2
	s_and_not1_saveexec_b32 s18, s18
	s_cbranch_execz .LBB0_214
; %bb.213:                              ;   in Loop: Header=BB0_180 Depth=2
	global_wb scope:SCOPE_DEV
	s_wait_storecnt 0x0
	s_wait_loadcnt_dscnt 0x0
	global_inv scope:SCOPE_DEV
	s_barrier_signal -1
	s_barrier_wait -1
.LBB0_214:                              ;   in Loop: Header=BB0_180 Depth=2
	s_or_b32 exec_lo, exec_lo, s18
.LBB0_215:                              ;   in Loop: Header=BB0_180 Depth=2
	s_delay_alu instid0(SALU_CYCLE_1)
	s_or_b32 exec_lo, exec_lo, s8
	v_dual_mov_b32 v102, v0 :: v_dual_add_nc_u32 v13, 1, v114
	s_and_saveexec_b32 s18, s7
	s_cbranch_execnz .LBB0_224
; %bb.216:                              ;   in Loop: Header=BB0_180 Depth=2
	s_or_b32 exec_lo, exec_lo, s18
	s_and_saveexec_b32 s8, s3
	s_cbranch_execnz .LBB0_257
.LBB0_217:                              ;   in Loop: Header=BB0_180 Depth=2
	s_or_b32 exec_lo, exec_lo, s8
	s_and_saveexec_b32 s8, s6
	s_cbranch_execz .LBB0_219
.LBB0_218:                              ;   in Loop: Header=BB0_180 Depth=2
	v_add_nc_u64_e32 v[38:39], 1, v[38:39]
	global_wb scope:SCOPE_SYS
	s_wait_storecnt 0x0
	s_wait_loadcnt_dscnt 0x0
	flat_store_b64 v[48:49], v[38:39] scope:SCOPE_SYS
.LBB0_219:                              ;   in Loop: Header=BB0_180 Depth=2
	s_wait_xcnt 0x0
	s_or_b32 exec_lo, exec_lo, s8
	v_and_b32_e32 v14, 0x7ffffff8, v114
	v_mov_b32_e32 v15, v12
	v_cmp_gt_i32_e64 s8, s13, v102
	s_delay_alu instid0(VALU_DEP_2) | instskip(SKIP_1) | instid1(SALU_CYCLE_1)
	v_cmp_eq_u64_e32 vcc_lo, 0x7ffffff8, v[14:15]
	s_and_b32 s18, vcc_lo, s8
	s_and_saveexec_b32 s8, s18
	s_cbranch_execz .LBB0_222
; %bb.220:                              ;   in Loop: Header=BB0_180 Depth=2
	v_and_b32_e32 v14, 7, v58
	v_ashrrev_i32_e32 v103, 31, v102
	s_mov_b32 s18, 0
	s_delay_alu instid0(VALU_DEP_2) | instskip(NEXT) | instid1(VALU_DEP_1)
	v_mul_lo_u32 v14, s13, v14
	v_ashrrev_i32_e32 v15, 31, v14
	s_delay_alu instid0(VALU_DEP_1) | instskip(NEXT) | instid1(VALU_DEP_1)
	v_lshlrev_b64_e32 v[14:15], 4, v[14:15]
	v_lshl_add_u64 v[14:15], v[102:103], 4, v[14:15]
	s_wait_loadcnt_dscnt 0x0
	s_delay_alu instid0(VALU_DEP_1)
	v_add_nc_u64_e32 v[16:17], v[36:37], v[14:15]
.LBB0_221:                              ;   Parent Loop BB0_62 Depth=1
                                        ;     Parent Loop BB0_180 Depth=2
                                        ; =>    This Inner Loop Header: Depth=3
	v_dual_mov_b32 v14, v12 :: v_dual_add_nc_u32 v102, v102, v18
	v_mov_b32_e32 v15, v13
	s_delay_alu instid0(VALU_DEP_2) | instskip(SKIP_4) | instid1(SALU_CYCLE_1)
	v_cmp_le_i32_e32 vcc_lo, s13, v102
	global_store_b128 v[16:17], v[12:15], off
	s_wait_xcnt 0x0
	v_add_nc_u64_e32 v[16:17], v[16:17], v[98:99]
	s_or_b32 s18, vcc_lo, s18
	s_and_not1_b32 exec_lo, exec_lo, s18
	s_cbranch_execnz .LBB0_221
.LBB0_222:                              ;   in Loop: Header=BB0_180 Depth=2
	s_or_b32 exec_lo, exec_lo, s8
	v_add_nc_u64_e32 v[34:35], 1, v[34:35]
	v_add_nc_u64_e32 v[114:115], 1, v[114:115]
	v_add_nc_u16 v58, v58, 1
	s_add_co_i32 s8, s17, 1
	s_cmp_eq_u32 s17, s16
	s_cbranch_scc1 .LBB0_276
; %bb.223:                              ;   in Loop: Header=BB0_180 Depth=2
	s_mov_b32 s17, s8
	s_branch .LBB0_180
.LBB0_224:                              ;   in Loop: Header=BB0_180 Depth=2
	s_wait_loadcnt_dscnt 0x0
	v_mad_nc_u64_u32 v[116:117], v24, v16, v[112:113]
	v_and_b32_e32 v14, 7, v34
	v_dual_mov_b32 v60, v57 :: v_dual_bitop2_b32 v15, 7, v114 bitop3:0x40
	v_add_nc_u32_e32 v59, 1, v34
	s_mov_b32 s19, 0
	s_delay_alu instid0(VALU_DEP_2) | instskip(SKIP_3) | instid1(VALU_DEP_4)
	v_mul_lo_u32 v102, v15, s13
	v_mad_u32 v17, v25, v16, v117
	v_ashrrev_i32_e32 v16, 31, v16
	v_mul_lo_u32 v14, v14, s13
	v_ashrrev_i32_e32 v103, 31, v102
	s_delay_alu instid0(VALU_DEP_3) | instskip(NEXT) | instid1(VALU_DEP_2)
	v_mad_u32 v117, v24, v16, v17
	v_lshl_add_u64 v[40:41], v[102:103], 4, v[36:37]
	s_delay_alu instid0(VALU_DEP_4) | instskip(NEXT) | instid1(VALU_DEP_1)
	v_dual_mov_b32 v102, v0 :: v_dual_ashrrev_i32 v15, 31, v14
	v_lshl_add_u64 v[118:119], v[14:15], 4, v[32:33]
	s_branch .LBB0_226
.LBB0_225:                              ;   in Loop: Header=BB0_226 Depth=3
	v_dual_sub_nc_u32 v60, v60, v84 :: v_dual_add_nc_u32 v102, v102, v18
	s_wait_xcnt 0x0
	v_add_nc_u64_e32 v[116:117], v[116:117], v[84:85]
	s_delay_alu instid0(VALU_DEP_2) | instskip(SKIP_1) | instid1(SALU_CYCLE_1)
	v_cmp_gt_i32_e32 vcc_lo, 1, v60
	s_or_b32 s19, vcc_lo, s19
	s_and_not1_b32 exec_lo, exec_lo, s19
	s_cbranch_execz .LBB0_256
.LBB0_226:                              ;   Parent Loop BB0_62 Depth=1
                                        ;     Parent Loop BB0_180 Depth=2
                                        ; =>    This Loop Header: Depth=3
                                        ;         Child Loop BB0_230 Depth 4
	s_delay_alu instid0(VALU_DEP_2) | instskip(SKIP_1) | instid1(VALU_DEP_1)
	v_ashrrev_i32_e32 v103, 31, v102
	s_mov_b32 s20, exec_lo
	v_lshl_add_u64 v[42:43], v[102:103], 4, v[118:119]
	global_load_b128 v[14:17], v[42:43], off th:TH_LOAD_NT
	s_wait_xcnt 0x0
	v_cmpx_eq_u32_e32 0, v19
	s_cbranch_execz .LBB0_238
; %bb.227:                              ;   in Loop: Header=BB0_226 Depth=3
	s_wait_loadcnt 0x0
	v_cmp_ne_u32_e32 vcc_lo, v59, v15
	v_cmp_ne_u32_e64 s8, v59, v17
	v_mov_b32_e32 v19, 0
	s_or_b32 s8, vcc_lo, s8
	s_delay_alu instid0(SALU_CYCLE_1)
	s_and_saveexec_b32 s21, s8
	s_cbranch_execz .LBB0_237
; %bb.228:                              ;   in Loop: Header=BB0_226 Depth=3
	s_mov_b32 s25, 1
	s_mov_b32 s23, 0
                                        ; implicit-def: $sgpr22
                                        ; implicit-def: $sgpr24
	s_branch .LBB0_230
.LBB0_229:                              ;   in Loop: Header=BB0_230 Depth=4
	s_or_b32 exec_lo, exec_lo, s27
	s_delay_alu instid0(SALU_CYCLE_1) | instskip(NEXT) | instid1(SALU_CYCLE_1)
	s_and_b32 s8, exec_lo, s8
	s_or_b32 s23, s8, s23
	s_and_not1_b32 s8, s22, exec_lo
	s_and_b32 s22, s24, exec_lo
	s_delay_alu instid0(SALU_CYCLE_1)
	s_or_b32 s22, s8, s22
	s_and_not1_b32 exec_lo, exec_lo, s23
	s_cbranch_execz .LBB0_234
.LBB0_230:                              ;   Parent Loop BB0_62 Depth=1
                                        ;     Parent Loop BB0_180 Depth=2
                                        ;       Parent Loop BB0_226 Depth=3
                                        ; =>      This Inner Loop Header: Depth=4
	s_wait_loadcnt 0x0
	global_load_b128 v[14:17], v[42:43], off th:TH_LOAD_NT
	s_add_co_i32 s25, s25, 1
	s_mov_b32 s8, -1
	s_cmp_lg_u32 s25, 0x2710
	s_mov_b32 s26, -1
                                        ; implicit-def: $vgpr61
	s_cbranch_scc0 .LBB0_232
; %bb.231:                              ;   in Loop: Header=BB0_230 Depth=4
	s_or_b32 s24, s24, exec_lo
	s_wait_xcnt 0x0
	s_and_saveexec_b32 s27, s26
	s_cbranch_execz .LBB0_229
	s_branch .LBB0_233
.LBB0_232:                              ;   in Loop: Header=BB0_230 Depth=4
	s_trap 2
	ds_load_b64 v[62:63], v0
	s_mov_b32 s25, 0
	s_wait_storecnt 0x0
	s_wait_loadcnt_dscnt 0x0
	flat_load_b32 v61, v[62:63] scope:SCOPE_SYS
	s_wait_loadcnt_dscnt 0x0
	global_inv scope:SCOPE_SYS
	v_cmp_eq_u32_e32 vcc_lo, 0, v61
	s_or_not1_b32 s26, vcc_lo, exec_lo
	s_or_b32 s24, s24, exec_lo
	s_wait_xcnt 0x0
	s_and_saveexec_b32 s27, s26
	s_cbranch_execz .LBB0_229
.LBB0_233:                              ;   in Loop: Header=BB0_230 Depth=4
	s_wait_loadcnt 0x0
	v_cmp_eq_u32_e32 vcc_lo, v59, v15
	v_cmp_eq_u32_e64 s8, v59, v17
	s_and_not1_b32 s24, s24, exec_lo
	s_and_b32 s8, vcc_lo, s8
	s_delay_alu instid0(SALU_CYCLE_1)
	s_or_not1_b32 s8, s8, exec_lo
	s_branch .LBB0_229
.LBB0_234:                              ;   in Loop: Header=BB0_226 Depth=3
	s_or_b32 exec_lo, exec_lo, s23
	v_mov_b32_e32 v19, 0
	s_and_saveexec_b32 s8, s22
	s_delay_alu instid0(SALU_CYCLE_1)
	s_xor_b32 s8, exec_lo, s8
	s_cbranch_execz .LBB0_236
; %bb.235:                              ;   in Loop: Header=BB0_226 Depth=3
	v_mov_b32_e32 v19, 1
	s_wait_loadcnt 0x0
	s_wait_storecnt 0x0
	ds_store_b32 v0, v61
	s_trap 2
.LBB0_236:                              ;   in Loop: Header=BB0_226 Depth=3
	s_or_b32 exec_lo, exec_lo, s8
.LBB0_237:                              ;   in Loop: Header=BB0_226 Depth=3
	s_delay_alu instid0(SALU_CYCLE_1)
	s_or_b32 exec_lo, exec_lo, s21
.LBB0_238:                              ;   in Loop: Header=BB0_226 Depth=3
	s_delay_alu instid0(SALU_CYCLE_1)
	s_or_b32 exec_lo, exec_lo, s20
	v_cmp_lt_u32_e32 vcc_lo, 7, v60
	v_lshl_add_u64 v[42:43], v[102:103], 4, v[40:41]
	s_wait_loadcnt 0x0
	v_dual_mov_b32 v15, v13 :: v_dual_mov_b32 v17, v13
	s_mov_b32 s8, -1
	s_cmp_lg_u32 vcc_lo, exec_lo
	global_store_b128 v[42:43], v[14:17], off
	s_cbranch_scc0 .LBB0_254
; %bb.239:                              ;   in Loop: Header=BB0_226 Depth=3
	s_mov_b32 s20, exec_lo
	flat_store_b8 v[116:117], v14
	s_wait_xcnt 0x0
	v_cmpx_ne_u32_e32 1, v60
	s_cbranch_execz .LBB0_241
; %bb.240:                              ;   in Loop: Header=BB0_226 Depth=3
	v_lshrrev_b32_e32 v15, 8, v14
	flat_store_b8 v[116:117], v15 offset:1
.LBB0_241:                              ;   in Loop: Header=BB0_226 Depth=3
	s_wait_xcnt 0x0
	s_or_b32 exec_lo, exec_lo, s20
	s_delay_alu instid0(SALU_CYCLE_1)
	s_mov_b32 s20, exec_lo
	v_cmpx_lt_u32_e32 2, v60
	s_cbranch_execz .LBB0_243
; %bb.242:                              ;   in Loop: Header=BB0_226 Depth=3
	flat_store_d16_hi_b8 v[116:117], v14 offset:2
.LBB0_243:                              ;   in Loop: Header=BB0_226 Depth=3
	s_wait_xcnt 0x0
	s_or_b32 exec_lo, exec_lo, s20
	s_delay_alu instid0(SALU_CYCLE_1)
	s_mov_b32 s20, exec_lo
	v_cmpx_lt_u32_e32 3, v60
	s_cbranch_execz .LBB0_245
; %bb.244:                              ;   in Loop: Header=BB0_226 Depth=3
	v_lshrrev_b32_e32 v15, 24, v14
	flat_store_b8 v[116:117], v15 offset:3
.LBB0_245:                              ;   in Loop: Header=BB0_226 Depth=3
	s_wait_xcnt 0x0
	s_or_b32 exec_lo, exec_lo, s20
	s_delay_alu instid0(SALU_CYCLE_1)
	s_mov_b32 s20, exec_lo
	v_cmpx_lt_u32_e32 4, v60
	s_cbranch_execz .LBB0_247
; %bb.246:                              ;   in Loop: Header=BB0_226 Depth=3
	flat_store_b8 v[116:117], v16 offset:4
.LBB0_247:                              ;   in Loop: Header=BB0_226 Depth=3
	s_wait_xcnt 0x0
	s_or_b32 exec_lo, exec_lo, s20
	s_delay_alu instid0(SALU_CYCLE_1)
	s_mov_b32 s20, exec_lo
	v_cmpx_lt_u32_e32 5, v60
	s_cbranch_execz .LBB0_249
; %bb.248:                              ;   in Loop: Header=BB0_226 Depth=3
	v_lshrrev_b32_e32 v15, 8, v16
	flat_store_b8 v[116:117], v15 offset:5
.LBB0_249:                              ;   in Loop: Header=BB0_226 Depth=3
	s_wait_xcnt 0x0
	s_or_b32 exec_lo, exec_lo, s20
	s_delay_alu instid0(SALU_CYCLE_1)
	s_mov_b32 s20, exec_lo
	v_cmpx_lt_u32_e32 6, v60
	s_cbranch_execz .LBB0_251
; %bb.250:                              ;   in Loop: Header=BB0_226 Depth=3
	flat_store_d16_hi_b8 v[116:117], v16 offset:6
.LBB0_251:                              ;   in Loop: Header=BB0_226 Depth=3
	s_wait_xcnt 0x0
	s_or_b32 exec_lo, exec_lo, s20
	s_and_saveexec_b32 s8, vcc_lo
	s_cbranch_execz .LBB0_253
; %bb.252:                              ;   in Loop: Header=BB0_226 Depth=3
	v_lshrrev_b32_e32 v15, 24, v16
	flat_store_b8 v[116:117], v15 offset:7
.LBB0_253:                              ;   in Loop: Header=BB0_226 Depth=3
	s_wait_xcnt 0x0
	s_or_b32 exec_lo, exec_lo, s8
	s_mov_b32 s8, 0
.LBB0_254:                              ;   in Loop: Header=BB0_226 Depth=3
	s_delay_alu instid0(SALU_CYCLE_1)
	s_and_b32 vcc_lo, exec_lo, s8
	s_cbranch_vccz .LBB0_225
; %bb.255:                              ;   in Loop: Header=BB0_226 Depth=3
	s_wait_xcnt 0x0
	v_mov_b32_e32 v15, v16
	global_store_b64 v[116:117], v[14:15], off
	s_branch .LBB0_225
.LBB0_256:                              ;   in Loop: Header=BB0_180 Depth=2
	s_or_b32 exec_lo, exec_lo, s19
	s_delay_alu instid0(SALU_CYCLE_1)
	s_or_b32 exec_lo, exec_lo, s18
	s_and_saveexec_b32 s8, s3
	s_cbranch_execz .LBB0_217
.LBB0_257:                              ;   in Loop: Header=BB0_180 Depth=2
	s_and_saveexec_b32 s18, s4
	s_delay_alu instid0(SALU_CYCLE_1)
	s_xor_b32 s18, exec_lo, s18
	s_cbranch_execz .LBB0_272
; %bb.258:                              ;   in Loop: Header=BB0_180 Depth=2
	s_and_saveexec_b32 s19, s5
	s_cbranch_execz .LBB0_271
; %bb.259:                              ;   in Loop: Header=BB0_180 Depth=2
	s_mov_b32 s21, exec_lo
	s_mov_b32 s20, exec_lo
	v_mbcnt_lo_u32_b32 v14, s21, 0
	global_wb scope:SCOPE_DEV
	s_wait_storecnt 0x0
	s_wait_loadcnt_dscnt 0x0
	global_inv scope:SCOPE_DEV
	v_cmpx_eq_u32_e32 0, v14
	s_cbranch_execz .LBB0_261
; %bb.260:                              ;   in Loop: Header=BB0_180 Depth=2
	s_bcnt1_i32_b32 s21, s21
	s_delay_alu instid0(SALU_CYCLE_1)
	v_dual_mov_b32 v15, v12 :: v_dual_mov_b32 v14, s21
	s_wait_loadcnt 0x0
	ds_add_u64 v0, v[14:15]
	s_trap 2
.LBB0_261:                              ;   in Loop: Header=BB0_180 Depth=2
	s_or_b32 exec_lo, exec_lo, s20
	s_trap 2
	ds_load_b64 v[14:15], v0
	s_wait_dscnt 0x0
	v_add_nc_u64_e32 v[52:53], v[52:53], v[80:81]
	s_mov_b32 s20, exec_lo
	s_delay_alu instid0(VALU_DEP_1)
	v_cmpx_lt_u64_e64 v[14:15], v[52:53]
	s_cbranch_execz .LBB0_270
; %bb.262:                              ;   in Loop: Header=BB0_180 Depth=2
	s_mov_b32 s21, 0
	s_mov_b32 s24, 0
                                        ; implicit-def: $sgpr22
                                        ; implicit-def: $sgpr23
	s_branch .LBB0_264
.LBB0_263:                              ;   in Loop: Header=BB0_264 Depth=3
	s_or_b32 exec_lo, exec_lo, s26
	s_delay_alu instid0(SALU_CYCLE_1) | instskip(NEXT) | instid1(SALU_CYCLE_1)
	s_and_b32 s25, exec_lo, s27
	s_or_b32 s21, s25, s21
	s_and_not1_b32 s22, s22, exec_lo
	s_and_b32 s25, s23, exec_lo
	s_delay_alu instid0(SALU_CYCLE_1)
	s_or_b32 s22, s22, s25
	s_and_not1_b32 exec_lo, exec_lo, s21
	s_cbranch_execz .LBB0_268
.LBB0_264:                              ;   Parent Loop BB0_62 Depth=1
                                        ;     Parent Loop BB0_180 Depth=2
                                        ; =>    This Inner Loop Header: Depth=3
	s_add_co_i32 s24, s24, 1
	s_delay_alu instid0(SALU_CYCLE_1) | instskip(SKIP_1) | instid1(SALU_CYCLE_1)
	s_cmp_lg_u32 s24, 0x2710
	s_cselect_b32 s25, -1, 0
	s_and_b32 vcc_lo, exec_lo, s25
	s_cbranch_vccz .LBB0_266
; %bb.265:                              ;   in Loop: Header=BB0_264 Depth=3
	s_mov_b32 s27, -1
	s_or_b32 s23, s23, exec_lo
	s_and_saveexec_b32 s26, s25
	s_cbranch_execz .LBB0_263
	s_branch .LBB0_267
.LBB0_266:                              ;   in Loop: Header=BB0_264 Depth=3
	s_trap 2
	ds_load_b64 v[14:15], v0
	s_and_not1_b32 s25, s25, exec_lo
	s_mov_b32 s24, 0
	s_wait_loadcnt_dscnt 0x0
	flat_load_b32 v14, v[14:15] scope:SCOPE_SYS
	s_wait_loadcnt_dscnt 0x0
	global_inv scope:SCOPE_SYS
	v_cmp_eq_u32_e32 vcc_lo, 0, v14
	s_and_b32 s26, vcc_lo, exec_lo
	s_delay_alu instid0(SALU_CYCLE_1)
	s_or_b32 s25, s25, s26
	s_mov_b32 s27, -1
	s_or_b32 s23, s23, exec_lo
	s_and_saveexec_b32 s26, s25
	s_cbranch_execz .LBB0_263
.LBB0_267:                              ;   in Loop: Header=BB0_264 Depth=3
	s_sleep 1
	s_trap 2
	ds_load_b64 v[14:15], v0
	s_wait_dscnt 0x0
	s_and_not1_b32 s23, s23, exec_lo
	v_cmp_ge_u64_e32 vcc_lo, v[14:15], v[52:53]
	s_or_not1_b32 s27, vcc_lo, exec_lo
	s_branch .LBB0_263
.LBB0_268:                              ;   in Loop: Header=BB0_180 Depth=2
	s_or_b32 exec_lo, exec_lo, s21
	s_and_saveexec_b32 s21, s22
	s_delay_alu instid0(SALU_CYCLE_1)
	s_xor_b32 s21, exec_lo, s21
	s_cbranch_execz .LBB0_270
; %bb.269:                              ;   in Loop: Header=BB0_180 Depth=2
	ds_store_b32 v0, v1
	s_trap 2
.LBB0_270:                              ;   in Loop: Header=BB0_180 Depth=2
	s_or_b32 exec_lo, exec_lo, s20
	;;#ASMSTART
	s_wakeup
	;;#ASMEND
.LBB0_271:                              ;   in Loop: Header=BB0_180 Depth=2
	s_or_b32 exec_lo, exec_lo, s19
.LBB0_272:                              ;   in Loop: Header=BB0_180 Depth=2
	s_and_not1_saveexec_b32 s18, s18
	s_cbranch_execz .LBB0_274
; %bb.273:                              ;   in Loop: Header=BB0_180 Depth=2
	global_wb scope:SCOPE_DEV
	s_wait_storecnt 0x0
	s_wait_loadcnt_dscnt 0x0
	global_inv scope:SCOPE_DEV
	s_barrier_signal -1
	s_barrier_wait -1
.LBB0_274:                              ;   in Loop: Header=BB0_180 Depth=2
	s_or_b32 exec_lo, exec_lo, s18
	s_delay_alu instid0(SALU_CYCLE_1)
	s_or_b32 exec_lo, exec_lo, s8
	s_and_saveexec_b32 s8, s6
	s_cbranch_execnz .LBB0_218
	s_branch .LBB0_219
.LBB0_275:                              ;   in Loop: Header=BB0_62 Depth=1
	s_delay_alu instid0(VALU_DEP_1)
	v_mov_b64_e32 v[102:103], v[114:115]
	v_mov_b32_e32 v57, v13
	s_branch .LBB0_277
.LBB0_276:                              ;   in Loop: Header=BB0_62 Depth=1
	s_delay_alu instid0(VALU_DEP_2)
	v_mov_b64_e32 v[102:103], v[114:115]
.LBB0_277:                              ;   in Loop: Header=BB0_62 Depth=1
	s_mov_b32 s8, exec_lo
	s_delay_alu instid0(VALU_DEP_1)
	v_cmpx_lt_i32_e32 0, v57
	s_cbranch_execnz .LBB0_280
; %bb.278:                              ;   in Loop: Header=BB0_62 Depth=1
	s_or_b32 exec_lo, exec_lo, s8
	s_and_saveexec_b32 s7, s3
	s_cbranch_execnz .LBB0_313
.LBB0_279:                              ;   in Loop: Header=BB0_62 Depth=1
	s_or_b32 exec_lo, exec_lo, s7
	s_and_saveexec_b32 s7, s6
	s_cbranch_execz .LBB0_61
	s_branch .LBB0_331
.LBB0_280:                              ;   in Loop: Header=BB0_62 Depth=1
	flat_load_b32 v13, v[22:23] offset:4
	s_wait_loadcnt_dscnt 0x101
	v_dual_mov_b32 v114, v0 :: v_dual_bitop2_b32 v16, 7, v34 bitop3:0x40
	s_mov_b32 s17, 0
	s_wait_loadcnt_dscnt 0x0
	v_mad_nc_u64_u32 v[14:15], v24, v13, v[100:101]
	s_delay_alu instid0(VALU_DEP_1) | instskip(SKIP_2) | instid1(VALU_DEP_2)
	v_mad_u32 v15, v25, v13, v15
	v_ashrrev_i32_e32 v13, 31, v13
	v_mul_lo_u32 v16, v16, s13
	v_mad_u32 v15, v24, v13, v15
	s_delay_alu instid0(VALU_DEP_2) | instskip(NEXT) | instid1(VALU_DEP_1)
	v_dual_add_nc_u32 v13, 1, v34 :: v_dual_ashrrev_i32 v17, 31, v16
	v_lshl_add_u64 v[112:113], v[16:17], 4, v[32:33]
	s_delay_alu instid0(VALU_DEP_3)
	v_add_nc_u64_e32 v[100:101], v[14:15], v[66:67]
	s_branch .LBB0_282
.LBB0_281:                              ;   in Loop: Header=BB0_282 Depth=2
	v_dual_sub_nc_u32 v57, v57, v84 :: v_dual_add_nc_u32 v114, v114, v18
	s_wait_xcnt 0x0
	v_add_nc_u64_e32 v[100:101], v[100:101], v[84:85]
	s_delay_alu instid0(VALU_DEP_2) | instskip(SKIP_1) | instid1(SALU_CYCLE_1)
	v_cmp_gt_i32_e32 vcc_lo, 1, v57
	s_or_b32 s17, vcc_lo, s17
	s_and_not1_b32 exec_lo, exec_lo, s17
	s_cbranch_execz .LBB0_312
.LBB0_282:                              ;   Parent Loop BB0_62 Depth=1
                                        ; =>  This Loop Header: Depth=2
                                        ;       Child Loop BB0_286 Depth 3
	v_ashrrev_i32_e32 v115, 31, v114
	s_mov_b32 s18, exec_lo
	s_delay_alu instid0(VALU_DEP_1)
	v_lshl_add_u64 v[116:117], v[114:115], 4, v[112:113]
	s_wait_loadcnt 0x0
	global_load_b128 v[14:17], v[116:117], off th:TH_LOAD_NT
	s_wait_xcnt 0x0
	v_cmpx_eq_u32_e32 0, v19
	s_cbranch_execz .LBB0_294
; %bb.283:                              ;   in Loop: Header=BB0_282 Depth=2
	s_wait_loadcnt 0x0
	v_cmp_ne_u32_e32 vcc_lo, v13, v15
	v_cmp_ne_u32_e64 s7, v13, v17
	v_mov_b32_e32 v19, 0
	s_or_b32 s7, vcc_lo, s7
	s_delay_alu instid0(SALU_CYCLE_1)
	s_and_saveexec_b32 s19, s7
	s_cbranch_execz .LBB0_293
; %bb.284:                              ;   in Loop: Header=BB0_282 Depth=2
	s_mov_b32 s23, 1
	s_mov_b32 s21, 0
                                        ; implicit-def: $sgpr20
                                        ; implicit-def: $sgpr22
	s_branch .LBB0_286
.LBB0_285:                              ;   in Loop: Header=BB0_286 Depth=3
	s_or_b32 exec_lo, exec_lo, s25
	s_delay_alu instid0(SALU_CYCLE_1) | instskip(NEXT) | instid1(SALU_CYCLE_1)
	s_and_b32 s7, exec_lo, s7
	s_or_b32 s21, s7, s21
	s_and_not1_b32 s7, s20, exec_lo
	s_and_b32 s20, s22, exec_lo
	s_delay_alu instid0(SALU_CYCLE_1)
	s_or_b32 s20, s7, s20
	s_and_not1_b32 exec_lo, exec_lo, s21
	s_cbranch_execz .LBB0_290
.LBB0_286:                              ;   Parent Loop BB0_62 Depth=1
                                        ;     Parent Loop BB0_282 Depth=2
                                        ; =>    This Inner Loop Header: Depth=3
	s_wait_loadcnt 0x0
	global_load_b128 v[14:17], v[116:117], off th:TH_LOAD_NT
	s_add_co_i32 s23, s23, 1
	s_mov_b32 s7, -1
	s_cmp_lg_u32 s23, 0x2710
	s_mov_b32 s24, -1
                                        ; implicit-def: $vgpr115
	s_cbranch_scc0 .LBB0_288
; %bb.287:                              ;   in Loop: Header=BB0_286 Depth=3
	s_or_b32 s22, s22, exec_lo
	s_wait_xcnt 0x0
	s_and_saveexec_b32 s25, s24
	s_cbranch_execz .LBB0_285
	s_branch .LBB0_289
.LBB0_288:                              ;   in Loop: Header=BB0_286 Depth=3
	s_trap 2
	ds_load_b64 v[118:119], v0
	s_mov_b32 s23, 0
	s_wait_storecnt 0x0
	s_wait_loadcnt_dscnt 0x0
	flat_load_b32 v115, v[118:119] scope:SCOPE_SYS
	s_wait_loadcnt_dscnt 0x0
	global_inv scope:SCOPE_SYS
	v_cmp_eq_u32_e32 vcc_lo, 0, v115
	s_or_not1_b32 s24, vcc_lo, exec_lo
	s_or_b32 s22, s22, exec_lo
	s_wait_xcnt 0x0
	s_and_saveexec_b32 s25, s24
	s_cbranch_execz .LBB0_285
.LBB0_289:                              ;   in Loop: Header=BB0_286 Depth=3
	s_wait_loadcnt 0x0
	v_cmp_eq_u32_e32 vcc_lo, v13, v15
	v_cmp_eq_u32_e64 s7, v13, v17
	s_and_not1_b32 s22, s22, exec_lo
	s_and_b32 s7, vcc_lo, s7
	s_delay_alu instid0(SALU_CYCLE_1)
	s_or_not1_b32 s7, s7, exec_lo
	s_branch .LBB0_285
.LBB0_290:                              ;   in Loop: Header=BB0_282 Depth=2
	s_or_b32 exec_lo, exec_lo, s21
	v_mov_b32_e32 v19, 0
	s_and_saveexec_b32 s7, s20
	s_delay_alu instid0(SALU_CYCLE_1)
	s_xor_b32 s7, exec_lo, s7
	s_cbranch_execz .LBB0_292
; %bb.291:                              ;   in Loop: Header=BB0_282 Depth=2
	v_mov_b32_e32 v19, 1
	s_wait_loadcnt 0x0
	s_wait_storecnt 0x0
	ds_store_b32 v0, v115
	s_trap 2
.LBB0_292:                              ;   in Loop: Header=BB0_282 Depth=2
	s_or_b32 exec_lo, exec_lo, s7
.LBB0_293:                              ;   in Loop: Header=BB0_282 Depth=2
	s_delay_alu instid0(SALU_CYCLE_1)
	s_or_b32 exec_lo, exec_lo, s19
.LBB0_294:                              ;   in Loop: Header=BB0_282 Depth=2
	s_delay_alu instid0(SALU_CYCLE_1)
	s_or_b32 exec_lo, exec_lo, s18
	v_cmp_lt_u32_e32 vcc_lo, 7, v57
	s_mov_b32 s7, -1
	s_cmp_lg_u32 vcc_lo, exec_lo
	s_cbranch_scc0 .LBB0_310
; %bb.295:                              ;   in Loop: Header=BB0_282 Depth=2
	s_mov_b32 s18, exec_lo
	s_wait_loadcnt 0x0
	flat_store_b8 v[100:101], v14
	s_wait_xcnt 0x0
	v_cmpx_ne_u32_e32 1, v57
	s_cbranch_execz .LBB0_297
; %bb.296:                              ;   in Loop: Header=BB0_282 Depth=2
	v_lshrrev_b32_e32 v15, 8, v14
	flat_store_b8 v[100:101], v15 offset:1
.LBB0_297:                              ;   in Loop: Header=BB0_282 Depth=2
	s_wait_xcnt 0x0
	s_or_b32 exec_lo, exec_lo, s18
	s_delay_alu instid0(SALU_CYCLE_1)
	s_mov_b32 s18, exec_lo
	v_cmpx_lt_u32_e32 2, v57
	s_cbranch_execz .LBB0_299
; %bb.298:                              ;   in Loop: Header=BB0_282 Depth=2
	flat_store_d16_hi_b8 v[100:101], v14 offset:2
.LBB0_299:                              ;   in Loop: Header=BB0_282 Depth=2
	s_wait_xcnt 0x0
	s_or_b32 exec_lo, exec_lo, s18
	s_delay_alu instid0(SALU_CYCLE_1)
	s_mov_b32 s18, exec_lo
	v_cmpx_lt_u32_e32 3, v57
	s_cbranch_execz .LBB0_301
; %bb.300:                              ;   in Loop: Header=BB0_282 Depth=2
	v_lshrrev_b32_e32 v15, 24, v14
	flat_store_b8 v[100:101], v15 offset:3
.LBB0_301:                              ;   in Loop: Header=BB0_282 Depth=2
	s_wait_xcnt 0x0
	s_or_b32 exec_lo, exec_lo, s18
	s_delay_alu instid0(SALU_CYCLE_1)
	s_mov_b32 s18, exec_lo
	v_cmpx_lt_u32_e32 4, v57
	s_cbranch_execz .LBB0_303
; %bb.302:                              ;   in Loop: Header=BB0_282 Depth=2
	flat_store_b8 v[100:101], v16 offset:4
.LBB0_303:                              ;   in Loop: Header=BB0_282 Depth=2
	s_wait_xcnt 0x0
	s_or_b32 exec_lo, exec_lo, s18
	s_delay_alu instid0(SALU_CYCLE_1)
	s_mov_b32 s18, exec_lo
	v_cmpx_lt_u32_e32 5, v57
	s_cbranch_execz .LBB0_305
; %bb.304:                              ;   in Loop: Header=BB0_282 Depth=2
	v_lshrrev_b32_e32 v15, 8, v16
	flat_store_b8 v[100:101], v15 offset:5
.LBB0_305:                              ;   in Loop: Header=BB0_282 Depth=2
	s_wait_xcnt 0x0
	s_or_b32 exec_lo, exec_lo, s18
	s_delay_alu instid0(SALU_CYCLE_1)
	s_mov_b32 s18, exec_lo
	v_cmpx_lt_u32_e32 6, v57
	s_cbranch_execz .LBB0_307
; %bb.306:                              ;   in Loop: Header=BB0_282 Depth=2
	flat_store_d16_hi_b8 v[100:101], v16 offset:6
.LBB0_307:                              ;   in Loop: Header=BB0_282 Depth=2
	s_wait_xcnt 0x0
	s_or_b32 exec_lo, exec_lo, s18
	s_and_saveexec_b32 s7, vcc_lo
	s_cbranch_execz .LBB0_309
; %bb.308:                              ;   in Loop: Header=BB0_282 Depth=2
	v_lshrrev_b32_e32 v15, 24, v16
	flat_store_b8 v[100:101], v15 offset:7
.LBB0_309:                              ;   in Loop: Header=BB0_282 Depth=2
	s_wait_xcnt 0x0
	s_or_b32 exec_lo, exec_lo, s7
	s_mov_b32 s7, 0
.LBB0_310:                              ;   in Loop: Header=BB0_282 Depth=2
	s_delay_alu instid0(SALU_CYCLE_1)
	s_and_b32 vcc_lo, exec_lo, s7
	s_cbranch_vccz .LBB0_281
; %bb.311:                              ;   in Loop: Header=BB0_282 Depth=2
	s_wait_loadcnt 0x0
	v_mov_b32_e32 v15, v16
	global_store_b64 v[100:101], v[14:15], off
	s_branch .LBB0_281
.LBB0_312:                              ;   in Loop: Header=BB0_62 Depth=1
	s_or_b32 exec_lo, exec_lo, s17
	s_delay_alu instid0(SALU_CYCLE_1)
	s_or_b32 exec_lo, exec_lo, s8
	s_and_saveexec_b32 s7, s3
	s_cbranch_execz .LBB0_279
.LBB0_313:                              ;   in Loop: Header=BB0_62 Depth=1
	s_and_saveexec_b32 s8, s4
	s_delay_alu instid0(SALU_CYCLE_1)
	s_xor_b32 s8, exec_lo, s8
	s_cbranch_execz .LBB0_328
; %bb.314:                              ;   in Loop: Header=BB0_62 Depth=1
	s_and_saveexec_b32 s17, s5
	s_cbranch_execz .LBB0_327
; %bb.315:                              ;   in Loop: Header=BB0_62 Depth=1
	s_mov_b32 s19, exec_lo
	s_mov_b32 s18, exec_lo
	v_mbcnt_lo_u32_b32 v13, s19, 0
	global_wb scope:SCOPE_DEV
	s_wait_storecnt 0x0
	s_wait_loadcnt_dscnt 0x0
	global_inv scope:SCOPE_DEV
	v_cmpx_eq_u32_e32 0, v13
	s_cbranch_execz .LBB0_317
; %bb.316:                              ;   in Loop: Header=BB0_62 Depth=1
	s_bcnt1_i32_b32 s19, s19
	s_delay_alu instid0(SALU_CYCLE_1)
	v_dual_mov_b32 v15, v12 :: v_dual_mov_b32 v14, s19
	s_wait_loadcnt 0x0
	ds_add_u64 v0, v[14:15]
	s_trap 2
.LBB0_317:                              ;   in Loop: Header=BB0_62 Depth=1
	s_or_b32 exec_lo, exec_lo, s18
	s_trap 2
	ds_load_b64 v[14:15], v0
	s_wait_dscnt 0x0
	v_add_nc_u64_e32 v[52:53], v[52:53], v[80:81]
	s_mov_b32 s18, exec_lo
	s_delay_alu instid0(VALU_DEP_1)
	v_cmpx_lt_u64_e64 v[14:15], v[52:53]
	s_cbranch_execz .LBB0_326
; %bb.318:                              ;   in Loop: Header=BB0_62 Depth=1
	s_mov_b32 s19, 0
	s_mov_b32 s22, 0
                                        ; implicit-def: $sgpr20
                                        ; implicit-def: $sgpr21
	s_branch .LBB0_320
.LBB0_319:                              ;   in Loop: Header=BB0_320 Depth=2
	s_or_b32 exec_lo, exec_lo, s24
	s_delay_alu instid0(SALU_CYCLE_1) | instskip(NEXT) | instid1(SALU_CYCLE_1)
	s_and_b32 s23, exec_lo, s25
	s_or_b32 s19, s23, s19
	s_and_not1_b32 s20, s20, exec_lo
	s_and_b32 s23, s21, exec_lo
	s_delay_alu instid0(SALU_CYCLE_1)
	s_or_b32 s20, s20, s23
	s_and_not1_b32 exec_lo, exec_lo, s19
	s_cbranch_execz .LBB0_324
.LBB0_320:                              ;   Parent Loop BB0_62 Depth=1
                                        ; =>  This Inner Loop Header: Depth=2
	s_add_co_i32 s22, s22, 1
	s_delay_alu instid0(SALU_CYCLE_1) | instskip(SKIP_1) | instid1(SALU_CYCLE_1)
	s_cmp_lg_u32 s22, 0x2710
	s_cselect_b32 s23, -1, 0
	s_and_b32 vcc_lo, exec_lo, s23
	s_cbranch_vccz .LBB0_322
; %bb.321:                              ;   in Loop: Header=BB0_320 Depth=2
	s_mov_b32 s25, -1
	s_or_b32 s21, s21, exec_lo
	s_and_saveexec_b32 s24, s23
	s_cbranch_execz .LBB0_319
	s_branch .LBB0_323
.LBB0_322:                              ;   in Loop: Header=BB0_320 Depth=2
	s_trap 2
	ds_load_b64 v[14:15], v0
	s_and_not1_b32 s23, s23, exec_lo
	s_mov_b32 s22, 0
	s_wait_loadcnt_dscnt 0x0
	flat_load_b32 v13, v[14:15] scope:SCOPE_SYS
	s_wait_loadcnt_dscnt 0x0
	global_inv scope:SCOPE_SYS
	v_cmp_eq_u32_e32 vcc_lo, 0, v13
	s_and_b32 s24, vcc_lo, exec_lo
	s_delay_alu instid0(SALU_CYCLE_1)
	s_or_b32 s23, s23, s24
	s_mov_b32 s25, -1
	s_or_b32 s21, s21, exec_lo
	s_and_saveexec_b32 s24, s23
	s_cbranch_execz .LBB0_319
.LBB0_323:                              ;   in Loop: Header=BB0_320 Depth=2
	s_sleep 1
	s_trap 2
	ds_load_b64 v[14:15], v0
	s_wait_dscnt 0x0
	s_and_not1_b32 s21, s21, exec_lo
	v_cmp_ge_u64_e32 vcc_lo, v[14:15], v[52:53]
	s_or_not1_b32 s25, vcc_lo, exec_lo
	s_branch .LBB0_319
.LBB0_324:                              ;   in Loop: Header=BB0_62 Depth=1
	s_or_b32 exec_lo, exec_lo, s19
	s_and_saveexec_b32 s19, s20
	s_delay_alu instid0(SALU_CYCLE_1)
	s_xor_b32 s19, exec_lo, s19
	s_cbranch_execz .LBB0_326
; %bb.325:                              ;   in Loop: Header=BB0_62 Depth=1
	ds_store_b32 v0, v1
	s_trap 2
.LBB0_326:                              ;   in Loop: Header=BB0_62 Depth=1
	s_or_b32 exec_lo, exec_lo, s18
	;;#ASMSTART
	s_wakeup
	;;#ASMEND
.LBB0_327:                              ;   in Loop: Header=BB0_62 Depth=1
	s_or_b32 exec_lo, exec_lo, s17
.LBB0_328:                              ;   in Loop: Header=BB0_62 Depth=1
	s_and_not1_saveexec_b32 s8, s8
	s_cbranch_execz .LBB0_330
; %bb.329:                              ;   in Loop: Header=BB0_62 Depth=1
	global_wb scope:SCOPE_DEV
	s_wait_storecnt 0x0
	s_wait_loadcnt_dscnt 0x0
	global_inv scope:SCOPE_DEV
	s_barrier_signal -1
	s_barrier_wait -1
.LBB0_330:                              ;   in Loop: Header=BB0_62 Depth=1
	s_or_b32 exec_lo, exec_lo, s8
	s_delay_alu instid0(SALU_CYCLE_1)
	s_or_b32 exec_lo, exec_lo, s7
	s_and_saveexec_b32 s7, s6
	s_cbranch_execz .LBB0_61
.LBB0_331:                              ;   in Loop: Header=BB0_62 Depth=1
	v_add_nc_u64_e32 v[38:39], 1, v[38:39]
	global_wb scope:SCOPE_SYS
	s_wait_storecnt 0x0
	s_wait_loadcnt_dscnt 0x0
	flat_store_b64 v[48:49], v[38:39] scope:SCOPE_SYS
	s_branch .LBB0_61
.LBB0_332:
	s_or_b32 exec_lo, exec_lo, s14
	s_delay_alu instid0(SALU_CYCLE_1)
	s_or_b32 exec_lo, exec_lo, s12
	s_and_saveexec_b32 s1, s9
	s_cbranch_execz .LBB0_46
.LBB0_333:
	s_wait_dscnt 0x0
	flat_store_b64 v[28:29], v[38:39] offset:104
	s_wait_xcnt 0x0
	s_or_b32 exec_lo, exec_lo, s1
	s_and_saveexec_b32 s1, s0
	s_cbranch_execnz .LBB0_47
	s_branch .LBB0_48
.LBB0_334:
	s_or_b32 exec_lo, exec_lo, s4
	s_and_saveexec_b32 s4, s5
	s_delay_alu instid0(SALU_CYCLE_1)
	s_xor_b32 s4, exec_lo, s4
	s_cbranch_execz .LBB0_336
; %bb.335:
	v_mov_b32_e32 v0, 1
	ds_store_b32 v0, v0
	s_trap 2
.LBB0_336:
	s_or_b32 exec_lo, exec_lo, s3
	;;#ASMSTART
	s_wakeup
	;;#ASMEND
.LBB0_337:
	s_or_b32 exec_lo, exec_lo, s2
.LBB0_338:
	s_and_not1_saveexec_b32 s1, s1
	s_cbranch_execz .LBB0_340
; %bb.339:
	global_wb scope:SCOPE_DEV
	s_wait_storecnt 0x0
	s_wait_loadcnt_dscnt 0x0
	global_inv scope:SCOPE_DEV
	s_barrier_signal -1
	s_barrier_wait -1
.LBB0_340:
	s_or_b32 exec_lo, exec_lo, s0
.LBB0_341:
	s_delay_alu instid0(SALU_CYCLE_1)
	s_or_b32 exec_lo, exec_lo, s11
	s_clause 0xf
	scratch_load_b32 v63, off, s32
	scratch_load_b32 v62, off, s32 offset:4
	scratch_load_b32 v61, off, s32 offset:8
	;; [unrolled: 1-line block ×15, first 2 shown]
	s_wait_loadcnt_dscnt 0x0
	s_set_pc_i64 s[30:31]
.Lfunc_end0:
	.size	_ZN12_GLOBAL__N_17runRingIa7FuncSumIaE7ProtoLLLi0ELi1ELi0ELb0EEEviiP15ncclDevWorkColl, .Lfunc_end0-_ZN12_GLOBAL__N_17runRingIa7FuncSumIaE7ProtoLLLi0ELi1ELi0ELb0EEEviiP15ncclDevWorkColl
                                        ; -- End function
	.set .L_ZN12_GLOBAL__N_17runRingIa7FuncSumIaE7ProtoLLLi0ELi1ELi0ELb0EEEviiP15ncclDevWorkColl.num_vgpr, 120
	.set .L_ZN12_GLOBAL__N_17runRingIa7FuncSumIaE7ProtoLLLi0ELi1ELi0ELb0EEEviiP15ncclDevWorkColl.num_agpr, 0
	.set .L_ZN12_GLOBAL__N_17runRingIa7FuncSumIaE7ProtoLLLi0ELi1ELi0ELb0EEEviiP15ncclDevWorkColl.numbered_sgpr, 33
	.set .L_ZN12_GLOBAL__N_17runRingIa7FuncSumIaE7ProtoLLLi0ELi1ELi0ELb0EEEviiP15ncclDevWorkColl.num_named_barrier, 0
	.set .L_ZN12_GLOBAL__N_17runRingIa7FuncSumIaE7ProtoLLLi0ELi1ELi0ELb0EEEviiP15ncclDevWorkColl.private_seg_size, 68
	.set .L_ZN12_GLOBAL__N_17runRingIa7FuncSumIaE7ProtoLLLi0ELi1ELi0ELb0EEEviiP15ncclDevWorkColl.uses_vcc, 1
	.set .L_ZN12_GLOBAL__N_17runRingIa7FuncSumIaE7ProtoLLLi0ELi1ELi0ELb0EEEviiP15ncclDevWorkColl.uses_flat_scratch, 1
	.set .L_ZN12_GLOBAL__N_17runRingIa7FuncSumIaE7ProtoLLLi0ELi1ELi0ELb0EEEviiP15ncclDevWorkColl.has_dyn_sized_stack, 0
	.set .L_ZN12_GLOBAL__N_17runRingIa7FuncSumIaE7ProtoLLLi0ELi1ELi0ELb0EEEviiP15ncclDevWorkColl.has_recursion, 0
	.set .L_ZN12_GLOBAL__N_17runRingIa7FuncSumIaE7ProtoLLLi0ELi1ELi0ELb0EEEviiP15ncclDevWorkColl.has_indirect_call, 0
	.section	.AMDGPU.csdata,"",@progbits
; Function info:
; codeLenInByte = 11332
; TotalNumSgprs: 35
; NumVgprs: 120
; ScratchSize: 68
; MemoryBound: 0
	.text
	.p2align	2                               ; -- Begin function _Z42ncclDevFunc_AllGather_RING_LL_Sum_i8_0_0_1v
	.type	_Z42ncclDevFunc_AllGather_RING_LL_Sum_i8_0_0_1v,@function
_Z42ncclDevFunc_AllGather_RING_LL_Sum_i8_0_0_1v: ; @_Z42ncclDevFunc_AllGather_RING_LL_Sum_i8_0_0_1v
; %bb.0:
	s_wait_loadcnt_dscnt 0x0
	s_wait_kmcnt 0x0
	s_mov_b32 s47, s33
	s_mov_b32 s33, s32
	s_or_saveexec_b32 s0, -1
	scratch_store_b32 off, v42, s33 offset:8 ; 4-byte Folded Spill
	s_wait_xcnt 0x0
	s_mov_b32 exec_lo, s0
	s_add_co_i32 s32, s32, 16
	s_clause 0x1
	scratch_store_b32 off, v40, s33 offset:4
	; meta instruction
	scratch_store_b32 off, v41, s33
	v_writelane_b32 v42, s30, 0
	v_writelane_b32 v42, s31, 1
	s_trap 2
	ds_load_b32 v0, v0
	s_wait_xcnt 0x1
	v_mov_b32_e32 v40, v31
	s_wait_dscnt 0x0
	v_cmp_gt_i32_e32 vcc_lo, 1, v0
	s_cbranch_vccnz .LBB1_8
; %bb.1:
	s_wait_xcnt 0x0
	v_and_b32_e32 v41, 0x3ff, v40
	s_mov_b32 s42, s12
	s_mov_b64 s[40:41], s[8:9]
	s_mov_b32 s43, 0
	s_get_pc_i64 s[44:45]
	s_add_nc_u64 s[44:45], s[44:45], _ZN12_GLOBAL__N_17runRingIa7FuncSumIaE7ProtoLLLi0ELi1ELi0ELb0EEEviiP15ncclDevWorkColl@rel64+4
	s_branch .LBB1_3
.LBB1_2:                                ;   in Loop: Header=BB1_3 Depth=1
	s_or_b32 exec_lo, exec_lo, s46
	s_trap 2
	ds_load_b32 v0, v0
	s_add_co_i32 s43, s43, 1
	s_wait_dscnt 0x0
	v_cmp_lt_i32_e32 vcc_lo, s43, v0
	s_cbranch_vccz .LBB1_8
.LBB1_3:                                ; =>This Inner Loop Header: Depth=1
	s_trap 2
	ds_load_b32 v0, v0
	s_cmp_eq_u32 s43, 0
	s_cbranch_scc1 .LBB1_6
; %bb.4:                                ;   in Loop: Header=BB1_3 Depth=1
	s_trap 2
	s_wait_dscnt 0x0
	ds_load_b32 v1, v0
	s_wait_dscnt 0x0
	v_xor_b32_e32 v1, v1, v0
	s_delay_alu instid0(VALU_DEP_1) | instskip(NEXT) | instid1(VALU_DEP_1)
	v_and_b32_e32 v1, 0xff0000, v1
	v_cmp_eq_u32_e32 vcc_lo, 0, v1
	s_cbranch_vccnz .LBB1_6
; %bb.5:                                ;   in Loop: Header=BB1_3 Depth=1
	s_wait_storecnt 0x0
	s_barrier_signal -1
	s_barrier_wait -1
	ds_load_b32 v0, v0
.LBB1_6:                                ;   in Loop: Header=BB1_3 Depth=1
	s_wait_dscnt 0x0
	v_lshrrev_b32_e32 v0, 11, v0
	s_mov_b32 s46, exec_lo
	s_delay_alu instid0(VALU_DEP_1) | instskip(NEXT) | instid1(VALU_DEP_1)
	v_and_b32_e32 v1, 0x1fe0, v0
	v_cmpx_lt_u32_e64 v41, v1
	s_cbranch_execz .LBB1_2
; %bb.7:                                ;   in Loop: Header=BB1_3 Depth=1
	s_mov_b64 s[0:1], src_shared_base
	v_dual_mov_b32 v31, v40 :: v_dual_mov_b32 v0, v41
	v_mov_b32_e32 v3, s1
	s_mov_b64 s[8:9], s[40:41]
	s_mov_b32 s12, s42
	s_swap_pc_i64 s[30:31], s[44:45]
	s_branch .LBB1_2
.LBB1_8:
	s_clause 0x1
	scratch_load_b32 v41, off, s33
	scratch_load_b32 v40, off, s33 offset:4
	v_readlane_b32 s30, v42, 0
	v_readlane_b32 s31, v42, 1
	s_mov_b32 s32, s33
	s_wait_xcnt 0x0
	s_or_saveexec_b32 s0, -1
	scratch_load_b32 v42, off, s33 offset:8 ; 4-byte Folded Reload
	s_wait_xcnt 0x0
	s_mov_b32 exec_lo, s0
	s_mov_b32 s33, s47
	s_wait_loadcnt 0x0
	s_set_pc_i64 s[30:31]
.Lfunc_end1:
	.size	_Z42ncclDevFunc_AllGather_RING_LL_Sum_i8_0_0_1v, .Lfunc_end1-_Z42ncclDevFunc_AllGather_RING_LL_Sum_i8_0_0_1v
                                        ; -- End function
	.set .L_Z42ncclDevFunc_AllGather_RING_LL_Sum_i8_0_0_1v.num_vgpr, max(43, .L_ZN12_GLOBAL__N_17runRingIa7FuncSumIaE7ProtoLLLi0ELi1ELi0ELb0EEEviiP15ncclDevWorkColl.num_vgpr)
	.set .L_Z42ncclDevFunc_AllGather_RING_LL_Sum_i8_0_0_1v.num_agpr, max(0, .L_ZN12_GLOBAL__N_17runRingIa7FuncSumIaE7ProtoLLLi0ELi1ELi0ELb0EEEviiP15ncclDevWorkColl.num_agpr)
	.set .L_Z42ncclDevFunc_AllGather_RING_LL_Sum_i8_0_0_1v.numbered_sgpr, max(48, .L_ZN12_GLOBAL__N_17runRingIa7FuncSumIaE7ProtoLLLi0ELi1ELi0ELb0EEEviiP15ncclDevWorkColl.numbered_sgpr)
	.set .L_Z42ncclDevFunc_AllGather_RING_LL_Sum_i8_0_0_1v.num_named_barrier, max(0, .L_ZN12_GLOBAL__N_17runRingIa7FuncSumIaE7ProtoLLLi0ELi1ELi0ELb0EEEviiP15ncclDevWorkColl.num_named_barrier)
	.set .L_Z42ncclDevFunc_AllGather_RING_LL_Sum_i8_0_0_1v.private_seg_size, 16+max(.L_ZN12_GLOBAL__N_17runRingIa7FuncSumIaE7ProtoLLLi0ELi1ELi0ELb0EEEviiP15ncclDevWorkColl.private_seg_size)
	.set .L_Z42ncclDevFunc_AllGather_RING_LL_Sum_i8_0_0_1v.uses_vcc, or(1, .L_ZN12_GLOBAL__N_17runRingIa7FuncSumIaE7ProtoLLLi0ELi1ELi0ELb0EEEviiP15ncclDevWorkColl.uses_vcc)
	.set .L_Z42ncclDevFunc_AllGather_RING_LL_Sum_i8_0_0_1v.uses_flat_scratch, or(1, .L_ZN12_GLOBAL__N_17runRingIa7FuncSumIaE7ProtoLLLi0ELi1ELi0ELb0EEEviiP15ncclDevWorkColl.uses_flat_scratch)
	.set .L_Z42ncclDevFunc_AllGather_RING_LL_Sum_i8_0_0_1v.has_dyn_sized_stack, or(0, .L_ZN12_GLOBAL__N_17runRingIa7FuncSumIaE7ProtoLLLi0ELi1ELi0ELb0EEEviiP15ncclDevWorkColl.has_dyn_sized_stack)
	.set .L_Z42ncclDevFunc_AllGather_RING_LL_Sum_i8_0_0_1v.has_recursion, or(1, .L_ZN12_GLOBAL__N_17runRingIa7FuncSumIaE7ProtoLLLi0ELi1ELi0ELb0EEEviiP15ncclDevWorkColl.has_recursion)
	.set .L_Z42ncclDevFunc_AllGather_RING_LL_Sum_i8_0_0_1v.has_indirect_call, or(0, .L_ZN12_GLOBAL__N_17runRingIa7FuncSumIaE7ProtoLLLi0ELi1ELi0ELb0EEEviiP15ncclDevWorkColl.has_indirect_call)
	.section	.AMDGPU.csdata,"",@progbits
; Function info:
; codeLenInByte = 436
; TotalNumSgprs: 50
; NumVgprs: 120
; ScratchSize: 84
; MemoryBound: 0
	.text
	.p2align	2                               ; -- Begin function __ockl_fprintf_append_string_n
	.type	__ockl_fprintf_append_string_n,@function
__ockl_fprintf_append_string_n:         ; @__ockl_fprintf_append_string_n
; %bb.0:
	s_wait_loadcnt_dscnt 0x0
	s_wait_kmcnt 0x0
	v_or_b32_e32 v2, 2, v0
	v_cmp_eq_u32_e32 vcc_lo, 0, v6
	v_mbcnt_lo_u32_b32 v30, -1, 0
	s_get_pc_i64 s[0:1]
	s_add_nc_u64 s[0:1], s[0:1], .str.4@rel64+4
	s_mov_b32 s6, 0
	s_cmp_lg_u64 s[0:1], 0
	v_cndmask_b32_e32 v3, v2, v0, vcc_lo
	s_cbranch_scc0 .LBB2_113
; %bb.1:
	s_load_b64 s[2:3], s[8:9], 0x50
	s_delay_alu instid0(VALU_DEP_1) | instskip(SKIP_3) | instid1(VALU_DEP_4)
	v_dual_mov_b32 v7, 0 :: v_dual_bitop2_b32 v0, -3, v3 bitop3:0x40
	v_mov_b64_e32 v[8:9], 0x100000002
	v_mov_b64_e32 v[32:33], s[0:1]
	v_and_b32_e32 v2, 2, v3
	v_mov_b64_e32 v[10:11], v[0:1]
	s_mov_b32 s7, 0
	s_branch .LBB2_3
.LBB2_2:                                ;   in Loop: Header=BB2_3 Depth=1
	s_or_b32 exec_lo, exec_lo, s10
	v_sub_nc_u64_e32 v[4:5], v[4:5], v[34:35]
	v_add_nc_u64_e32 v[32:33], v[32:33], v[34:35]
	s_delay_alu instid0(VALU_DEP_2) | instskip(SKIP_1) | instid1(SALU_CYCLE_1)
	v_cmp_eq_u64_e32 vcc_lo, 0, v[4:5]
	s_or_b32 s7, vcc_lo, s7
	s_and_not1_b32 exec_lo, exec_lo, s7
	s_cbranch_execz .LBB2_85
.LBB2_3:                                ; =>This Loop Header: Depth=1
                                        ;     Child Loop BB2_6 Depth 2
                                        ;     Child Loop BB2_14 Depth 2
                                        ;     Child Loop BB2_22 Depth 2
                                        ;     Child Loop BB2_30 Depth 2
                                        ;     Child Loop BB2_38 Depth 2
                                        ;     Child Loop BB2_46 Depth 2
                                        ;     Child Loop BB2_54 Depth 2
                                        ;     Child Loop BB2_62 Depth 2
                                        ;     Child Loop BB2_70 Depth 2
                                        ;     Child Loop BB2_79 Depth 2
                                        ;     Child Loop BB2_84 Depth 2
	v_min_u64 v[34:35], v[4:5], 56
	s_delay_alu instid0(VALU_DEP_3)
	v_add_nc_u64_e32 v[16:17], 8, v[32:33]
	s_mov_b32 s0, exec_lo
	v_cmpx_gt_u64_e32 8, v[4:5]
	s_xor_b32 s4, exec_lo, s0
	s_cbranch_execz .LBB2_9
; %bb.4:                                ;   in Loop: Header=BB2_3 Depth=1
	s_wait_loadcnt 0x0
	v_mov_b64_e32 v[12:13], 0
	s_mov_b32 s5, exec_lo
	v_cmpx_ne_u64_e32 0, v[4:5]
	s_cbranch_execz .LBB2_8
; %bb.5:                                ;   in Loop: Header=BB2_3 Depth=1
	v_mov_b64_e32 v[12:13], 0
	v_mov_b64_e32 v[14:15], v[32:33]
	v_lshlrev_b32_e32 v0, 3, v34
	s_mov_b64 s[0:1], 0
	s_mov_b32 s10, 0
.LBB2_6:                                ;   Parent Loop BB2_3 Depth=1
                                        ; =>  This Inner Loop Header: Depth=2
	global_load_u8 v6, v[14:15], off
	v_mov_b32_e32 v17, s6
	s_wait_xcnt 0x0
	v_add_nc_u64_e32 v[14:15], 1, v[14:15]
	s_wait_loadcnt 0x0
	v_and_b32_e32 v16, 0xffff, v6
	s_delay_alu instid0(VALU_DEP_1) | instskip(SKIP_1) | instid1(SALU_CYCLE_1)
	v_lshlrev_b64_e32 v[16:17], s0, v[16:17]
	s_add_nc_u64 s[0:1], s[0:1], 8
	v_cmp_eq_u32_e32 vcc_lo, s0, v0
	s_delay_alu instid0(VALU_DEP_2) | instskip(NEXT) | instid1(VALU_DEP_3)
	v_or_b32_e32 v13, v17, v13
	v_or_b32_e32 v12, v16, v12
	s_or_b32 s10, vcc_lo, s10
	s_delay_alu instid0(SALU_CYCLE_1)
	s_and_not1_b32 exec_lo, exec_lo, s10
	s_cbranch_execnz .LBB2_6
; %bb.7:                                ;   in Loop: Header=BB2_3 Depth=1
	s_or_b32 exec_lo, exec_lo, s10
.LBB2_8:                                ;   in Loop: Header=BB2_3 Depth=1
	s_delay_alu instid0(SALU_CYCLE_1)
	s_or_b32 exec_lo, exec_lo, s5
	v_mov_b64_e32 v[16:17], v[32:33]
.LBB2_9:                                ;   in Loop: Header=BB2_3 Depth=1
	s_or_saveexec_b32 s0, s4
	v_mov_b32_e32 v0, 0
	s_xor_b32 exec_lo, exec_lo, s0
	s_cbranch_execz .LBB2_11
; %bb.10:                               ;   in Loop: Header=BB2_3 Depth=1
	s_wait_loadcnt 0x0
	global_load_b64 v[12:13], v[32:33], off
	v_add_nc_u32_e32 v0, -8, v34
.LBB2_11:                               ;   in Loop: Header=BB2_3 Depth=1
	s_wait_xcnt 0x0
	s_or_b32 exec_lo, exec_lo, s0
	v_add_nc_u64_e32 v[18:19], 8, v[16:17]
                                        ; implicit-def: $vgpr14_vgpr15
	s_mov_b32 s0, exec_lo
	v_cmpx_gt_u32_e32 8, v0
	s_xor_b32 s10, exec_lo, s0
	s_cbranch_execz .LBB2_17
; %bb.12:                               ;   in Loop: Header=BB2_3 Depth=1
	v_mov_b64_e32 v[14:15], 0
	s_mov_b32 s11, exec_lo
	v_cmpx_ne_u32_e32 0, v0
	s_cbranch_execz .LBB2_16
; %bb.13:                               ;   in Loop: Header=BB2_3 Depth=1
	v_mov_b64_e32 v[14:15], 0
	s_mov_b64 s[0:1], 0
	s_mov_b32 s12, 0
	s_mov_b64 s[4:5], 0
.LBB2_14:                               ;   Parent Loop BB2_3 Depth=1
                                        ; =>  This Inner Loop Header: Depth=2
	s_delay_alu instid0(SALU_CYCLE_1) | instskip(SKIP_1) | instid1(SALU_CYCLE_1)
	v_add_nc_u64_e32 v[18:19], s[4:5], v[16:17]
	s_add_nc_u64 s[4:5], s[4:5], 1
	v_cmp_eq_u32_e32 vcc_lo, s4, v0
	global_load_u8 v6, v[18:19], off
	s_wait_xcnt 0x0
	v_mov_b32_e32 v19, s6
	s_or_b32 s12, vcc_lo, s12
	s_wait_loadcnt 0x0
	v_and_b32_e32 v18, 0xffff, v6
	s_delay_alu instid0(VALU_DEP_1) | instskip(SKIP_1) | instid1(VALU_DEP_1)
	v_lshlrev_b64_e32 v[18:19], s0, v[18:19]
	s_add_nc_u64 s[0:1], s[0:1], 8
	v_or_b32_e32 v15, v19, v15
	s_delay_alu instid0(VALU_DEP_2)
	v_or_b32_e32 v14, v18, v14
	s_and_not1_b32 exec_lo, exec_lo, s12
	s_cbranch_execnz .LBB2_14
; %bb.15:                               ;   in Loop: Header=BB2_3 Depth=1
	s_or_b32 exec_lo, exec_lo, s12
.LBB2_16:                               ;   in Loop: Header=BB2_3 Depth=1
	s_delay_alu instid0(SALU_CYCLE_1)
	s_or_b32 exec_lo, exec_lo, s11
	v_mov_b64_e32 v[18:19], v[16:17]
                                        ; implicit-def: $vgpr0
.LBB2_17:                               ;   in Loop: Header=BB2_3 Depth=1
	s_or_saveexec_b32 s0, s10
	v_mov_b32_e32 v6, 0
	s_xor_b32 exec_lo, exec_lo, s0
	s_cbranch_execz .LBB2_19
; %bb.18:                               ;   in Loop: Header=BB2_3 Depth=1
	global_load_b64 v[14:15], v[16:17], off
	v_add_nc_u32_e32 v6, -8, v0
.LBB2_19:                               ;   in Loop: Header=BB2_3 Depth=1
	s_wait_xcnt 0x0
	s_or_b32 exec_lo, exec_lo, s0
	v_add_nc_u64_e32 v[20:21], 8, v[18:19]
	s_mov_b32 s0, exec_lo
	v_cmpx_gt_u32_e32 8, v6
	s_xor_b32 s10, exec_lo, s0
	s_cbranch_execz .LBB2_25
; %bb.20:                               ;   in Loop: Header=BB2_3 Depth=1
	v_mov_b64_e32 v[16:17], 0
	s_mov_b32 s11, exec_lo
	v_cmpx_ne_u32_e32 0, v6
	s_cbranch_execz .LBB2_24
; %bb.21:                               ;   in Loop: Header=BB2_3 Depth=1
	v_mov_b64_e32 v[16:17], 0
	s_mov_b64 s[0:1], 0
	s_mov_b32 s12, 0
	s_mov_b64 s[4:5], 0
.LBB2_22:                               ;   Parent Loop BB2_3 Depth=1
                                        ; =>  This Inner Loop Header: Depth=2
	s_delay_alu instid0(SALU_CYCLE_1) | instskip(SKIP_1) | instid1(SALU_CYCLE_1)
	v_add_nc_u64_e32 v[20:21], s[4:5], v[18:19]
	s_add_nc_u64 s[4:5], s[4:5], 1
	v_cmp_eq_u32_e32 vcc_lo, s4, v6
	global_load_u8 v0, v[20:21], off
	s_wait_xcnt 0x0
	v_mov_b32_e32 v21, s6
	s_or_b32 s12, vcc_lo, s12
	s_wait_loadcnt 0x0
	v_and_b32_e32 v20, 0xffff, v0
	s_delay_alu instid0(VALU_DEP_1) | instskip(SKIP_1) | instid1(VALU_DEP_1)
	v_lshlrev_b64_e32 v[20:21], s0, v[20:21]
	s_add_nc_u64 s[0:1], s[0:1], 8
	v_or_b32_e32 v17, v21, v17
	s_delay_alu instid0(VALU_DEP_2)
	v_or_b32_e32 v16, v20, v16
	s_and_not1_b32 exec_lo, exec_lo, s12
	s_cbranch_execnz .LBB2_22
; %bb.23:                               ;   in Loop: Header=BB2_3 Depth=1
	s_or_b32 exec_lo, exec_lo, s12
.LBB2_24:                               ;   in Loop: Header=BB2_3 Depth=1
	s_delay_alu instid0(SALU_CYCLE_1)
	s_or_b32 exec_lo, exec_lo, s11
	v_mov_b64_e32 v[20:21], v[18:19]
                                        ; implicit-def: $vgpr6
.LBB2_25:                               ;   in Loop: Header=BB2_3 Depth=1
	s_or_saveexec_b32 s0, s10
	v_mov_b32_e32 v0, 0
	s_xor_b32 exec_lo, exec_lo, s0
	s_cbranch_execz .LBB2_27
; %bb.26:                               ;   in Loop: Header=BB2_3 Depth=1
	global_load_b64 v[16:17], v[18:19], off
	v_add_nc_u32_e32 v0, -8, v6
.LBB2_27:                               ;   in Loop: Header=BB2_3 Depth=1
	s_wait_xcnt 0x0
	s_or_b32 exec_lo, exec_lo, s0
	v_add_nc_u64_e32 v[22:23], 8, v[20:21]
                                        ; implicit-def: $vgpr18_vgpr19
	s_mov_b32 s0, exec_lo
	v_cmpx_gt_u32_e32 8, v0
	s_xor_b32 s10, exec_lo, s0
	s_cbranch_execz .LBB2_33
; %bb.28:                               ;   in Loop: Header=BB2_3 Depth=1
	v_mov_b64_e32 v[18:19], 0
	s_mov_b32 s11, exec_lo
	v_cmpx_ne_u32_e32 0, v0
	s_cbranch_execz .LBB2_32
; %bb.29:                               ;   in Loop: Header=BB2_3 Depth=1
	v_mov_b64_e32 v[18:19], 0
	s_mov_b64 s[0:1], 0
	s_mov_b32 s12, 0
	s_mov_b64 s[4:5], 0
.LBB2_30:                               ;   Parent Loop BB2_3 Depth=1
                                        ; =>  This Inner Loop Header: Depth=2
	s_delay_alu instid0(SALU_CYCLE_1) | instskip(SKIP_1) | instid1(SALU_CYCLE_1)
	v_add_nc_u64_e32 v[22:23], s[4:5], v[20:21]
	s_add_nc_u64 s[4:5], s[4:5], 1
	v_cmp_eq_u32_e32 vcc_lo, s4, v0
	global_load_u8 v6, v[22:23], off
	s_wait_xcnt 0x0
	v_mov_b32_e32 v23, s6
	s_or_b32 s12, vcc_lo, s12
	s_wait_loadcnt 0x0
	v_and_b32_e32 v22, 0xffff, v6
	s_delay_alu instid0(VALU_DEP_1) | instskip(SKIP_1) | instid1(VALU_DEP_1)
	v_lshlrev_b64_e32 v[22:23], s0, v[22:23]
	s_add_nc_u64 s[0:1], s[0:1], 8
	v_or_b32_e32 v19, v23, v19
	s_delay_alu instid0(VALU_DEP_2)
	v_or_b32_e32 v18, v22, v18
	s_and_not1_b32 exec_lo, exec_lo, s12
	s_cbranch_execnz .LBB2_30
; %bb.31:                               ;   in Loop: Header=BB2_3 Depth=1
	s_or_b32 exec_lo, exec_lo, s12
.LBB2_32:                               ;   in Loop: Header=BB2_3 Depth=1
	s_delay_alu instid0(SALU_CYCLE_1)
	s_or_b32 exec_lo, exec_lo, s11
	v_mov_b64_e32 v[22:23], v[20:21]
                                        ; implicit-def: $vgpr0
.LBB2_33:                               ;   in Loop: Header=BB2_3 Depth=1
	s_or_saveexec_b32 s0, s10
	v_mov_b32_e32 v6, 0
	s_xor_b32 exec_lo, exec_lo, s0
	s_cbranch_execz .LBB2_35
; %bb.34:                               ;   in Loop: Header=BB2_3 Depth=1
	global_load_b64 v[18:19], v[20:21], off
	v_add_nc_u32_e32 v6, -8, v0
.LBB2_35:                               ;   in Loop: Header=BB2_3 Depth=1
	s_wait_xcnt 0x0
	s_or_b32 exec_lo, exec_lo, s0
	v_add_nc_u64_e32 v[24:25], 8, v[22:23]
	s_mov_b32 s0, exec_lo
	v_cmpx_gt_u32_e32 8, v6
	s_xor_b32 s10, exec_lo, s0
	s_cbranch_execz .LBB2_41
; %bb.36:                               ;   in Loop: Header=BB2_3 Depth=1
	v_mov_b64_e32 v[20:21], 0
	s_mov_b32 s11, exec_lo
	v_cmpx_ne_u32_e32 0, v6
	s_cbranch_execz .LBB2_40
; %bb.37:                               ;   in Loop: Header=BB2_3 Depth=1
	v_mov_b64_e32 v[20:21], 0
	s_mov_b64 s[0:1], 0
	s_mov_b32 s12, 0
	s_mov_b64 s[4:5], 0
.LBB2_38:                               ;   Parent Loop BB2_3 Depth=1
                                        ; =>  This Inner Loop Header: Depth=2
	s_delay_alu instid0(SALU_CYCLE_1) | instskip(SKIP_1) | instid1(SALU_CYCLE_1)
	v_add_nc_u64_e32 v[24:25], s[4:5], v[22:23]
	s_add_nc_u64 s[4:5], s[4:5], 1
	v_cmp_eq_u32_e32 vcc_lo, s4, v6
	global_load_u8 v0, v[24:25], off
	s_wait_xcnt 0x0
	v_mov_b32_e32 v25, s6
	s_or_b32 s12, vcc_lo, s12
	s_wait_loadcnt 0x0
	v_and_b32_e32 v24, 0xffff, v0
	s_delay_alu instid0(VALU_DEP_1) | instskip(SKIP_1) | instid1(VALU_DEP_1)
	v_lshlrev_b64_e32 v[24:25], s0, v[24:25]
	s_add_nc_u64 s[0:1], s[0:1], 8
	v_or_b32_e32 v21, v25, v21
	s_delay_alu instid0(VALU_DEP_2)
	v_or_b32_e32 v20, v24, v20
	s_and_not1_b32 exec_lo, exec_lo, s12
	s_cbranch_execnz .LBB2_38
; %bb.39:                               ;   in Loop: Header=BB2_3 Depth=1
	s_or_b32 exec_lo, exec_lo, s12
.LBB2_40:                               ;   in Loop: Header=BB2_3 Depth=1
	s_delay_alu instid0(SALU_CYCLE_1)
	s_or_b32 exec_lo, exec_lo, s11
	v_mov_b64_e32 v[24:25], v[22:23]
                                        ; implicit-def: $vgpr6
.LBB2_41:                               ;   in Loop: Header=BB2_3 Depth=1
	s_or_saveexec_b32 s0, s10
	v_mov_b32_e32 v0, 0
	s_xor_b32 exec_lo, exec_lo, s0
	s_cbranch_execz .LBB2_43
; %bb.42:                               ;   in Loop: Header=BB2_3 Depth=1
	global_load_b64 v[20:21], v[22:23], off
	v_add_nc_u32_e32 v0, -8, v6
.LBB2_43:                               ;   in Loop: Header=BB2_3 Depth=1
	s_wait_xcnt 0x0
	s_or_b32 exec_lo, exec_lo, s0
	v_add_nc_u64_e32 v[26:27], 8, v[24:25]
                                        ; implicit-def: $vgpr22_vgpr23
	s_mov_b32 s0, exec_lo
	v_cmpx_gt_u32_e32 8, v0
	s_xor_b32 s10, exec_lo, s0
	s_cbranch_execz .LBB2_49
; %bb.44:                               ;   in Loop: Header=BB2_3 Depth=1
	v_mov_b64_e32 v[22:23], 0
	s_mov_b32 s11, exec_lo
	v_cmpx_ne_u32_e32 0, v0
	s_cbranch_execz .LBB2_48
; %bb.45:                               ;   in Loop: Header=BB2_3 Depth=1
	v_mov_b64_e32 v[22:23], 0
	s_mov_b64 s[0:1], 0
	s_mov_b32 s12, 0
	s_mov_b64 s[4:5], 0
.LBB2_46:                               ;   Parent Loop BB2_3 Depth=1
                                        ; =>  This Inner Loop Header: Depth=2
	s_delay_alu instid0(SALU_CYCLE_1) | instskip(SKIP_1) | instid1(SALU_CYCLE_1)
	v_add_nc_u64_e32 v[26:27], s[4:5], v[24:25]
	s_add_nc_u64 s[4:5], s[4:5], 1
	v_cmp_eq_u32_e32 vcc_lo, s4, v0
	global_load_u8 v6, v[26:27], off
	s_wait_xcnt 0x0
	v_mov_b32_e32 v27, s6
	s_or_b32 s12, vcc_lo, s12
	s_wait_loadcnt 0x0
	v_and_b32_e32 v26, 0xffff, v6
	s_delay_alu instid0(VALU_DEP_1) | instskip(SKIP_1) | instid1(VALU_DEP_1)
	v_lshlrev_b64_e32 v[26:27], s0, v[26:27]
	s_add_nc_u64 s[0:1], s[0:1], 8
	v_or_b32_e32 v23, v27, v23
	s_delay_alu instid0(VALU_DEP_2)
	v_or_b32_e32 v22, v26, v22
	s_and_not1_b32 exec_lo, exec_lo, s12
	s_cbranch_execnz .LBB2_46
; %bb.47:                               ;   in Loop: Header=BB2_3 Depth=1
	s_or_b32 exec_lo, exec_lo, s12
.LBB2_48:                               ;   in Loop: Header=BB2_3 Depth=1
	s_delay_alu instid0(SALU_CYCLE_1)
	s_or_b32 exec_lo, exec_lo, s11
	v_mov_b64_e32 v[26:27], v[24:25]
                                        ; implicit-def: $vgpr0
.LBB2_49:                               ;   in Loop: Header=BB2_3 Depth=1
	s_or_saveexec_b32 s0, s10
	v_mov_b32_e32 v6, 0
	s_xor_b32 exec_lo, exec_lo, s0
	s_cbranch_execz .LBB2_51
; %bb.50:                               ;   in Loop: Header=BB2_3 Depth=1
	global_load_b64 v[22:23], v[24:25], off
	v_add_nc_u32_e32 v6, -8, v0
.LBB2_51:                               ;   in Loop: Header=BB2_3 Depth=1
	s_wait_xcnt 0x0
	s_or_b32 exec_lo, exec_lo, s0
	s_delay_alu instid0(SALU_CYCLE_1) | instskip(NEXT) | instid1(VALU_DEP_1)
	s_mov_b32 s0, exec_lo
	v_cmpx_gt_u32_e32 8, v6
	s_xor_b32 s4, exec_lo, s0
	s_cbranch_execz .LBB2_57
; %bb.52:                               ;   in Loop: Header=BB2_3 Depth=1
	v_mov_b64_e32 v[24:25], 0
	s_mov_b32 s5, exec_lo
	v_cmpx_ne_u32_e32 0, v6
	s_cbranch_execz .LBB2_56
; %bb.53:                               ;   in Loop: Header=BB2_3 Depth=1
	v_mov_b64_e32 v[24:25], 0
	s_mov_b64 s[0:1], 0
	s_mov_b32 s10, 0
.LBB2_54:                               ;   Parent Loop BB2_3 Depth=1
                                        ; =>  This Inner Loop Header: Depth=2
	global_load_u8 v0, v[26:27], off
	v_dual_mov_b32 v29, s6 :: v_dual_add_nc_u32 v6, -1, v6
	s_wait_xcnt 0x0
	v_add_nc_u64_e32 v[26:27], 1, v[26:27]
	s_delay_alu instid0(VALU_DEP_2) | instskip(SKIP_3) | instid1(VALU_DEP_1)
	v_cmp_eq_u32_e32 vcc_lo, 0, v6
	s_or_b32 s10, vcc_lo, s10
	s_wait_loadcnt 0x0
	v_and_b32_e32 v28, 0xffff, v0
	v_lshlrev_b64_e32 v[28:29], s0, v[28:29]
	s_add_nc_u64 s[0:1], s[0:1], 8
	s_delay_alu instid0(VALU_DEP_1) | instskip(NEXT) | instid1(VALU_DEP_2)
	v_or_b32_e32 v25, v29, v25
	v_or_b32_e32 v24, v28, v24
	s_and_not1_b32 exec_lo, exec_lo, s10
	s_cbranch_execnz .LBB2_54
; %bb.55:                               ;   in Loop: Header=BB2_3 Depth=1
	s_or_b32 exec_lo, exec_lo, s10
.LBB2_56:                               ;   in Loop: Header=BB2_3 Depth=1
	s_delay_alu instid0(SALU_CYCLE_1)
	s_or_b32 exec_lo, exec_lo, s5
                                        ; implicit-def: $vgpr26_vgpr27
.LBB2_57:                               ;   in Loop: Header=BB2_3 Depth=1
	s_and_not1_saveexec_b32 s0, s4
	s_cbranch_execz .LBB2_59
; %bb.58:                               ;   in Loop: Header=BB2_3 Depth=1
	global_load_b64 v[24:25], v[26:27], off
.LBB2_59:                               ;   in Loop: Header=BB2_3 Depth=1
	s_wait_xcnt 0x0
	s_or_b32 exec_lo, exec_lo, s0
	v_readfirstlane_b32 s0, v30
	v_mov_b64_e32 v[36:37], 0
	s_delay_alu instid0(VALU_DEP_2)
	v_cmp_eq_u32_e64 s0, s0, v30
	s_and_saveexec_b32 s1, s0
	s_cbranch_execz .LBB2_65
; %bb.60:                               ;   in Loop: Header=BB2_3 Depth=1
	s_wait_kmcnt 0x0
	global_load_b64 v[28:29], v7, s[2:3] offset:24 scope:SCOPE_SYS
	s_wait_loadcnt 0x0
	global_inv scope:SCOPE_SYS
	s_clause 0x1
	global_load_b64 v[26:27], v7, s[2:3] offset:40
	global_load_b64 v[36:37], v7, s[2:3]
	s_mov_b32 s4, exec_lo
	s_wait_loadcnt 0x1
	v_and_b32_e32 v26, v26, v28
	v_and_b32_e32 v27, v27, v29
	s_delay_alu instid0(VALU_DEP_1) | instskip(SKIP_1) | instid1(VALU_DEP_1)
	v_mul_u64_e32 v[26:27], 24, v[26:27]
	s_wait_loadcnt 0x0
	v_add_nc_u64_e32 v[26:27], v[36:37], v[26:27]
	global_load_b64 v[26:27], v[26:27], off scope:SCOPE_SYS
	s_wait_xcnt 0x0
	s_wait_loadcnt 0x0
	global_atomic_cmpswap_b64 v[36:37], v7, v[26:29], s[2:3] offset:24 th:TH_ATOMIC_RETURN scope:SCOPE_SYS
	s_wait_loadcnt 0x0
	global_inv scope:SCOPE_SYS
	s_wait_xcnt 0x0
	v_cmpx_ne_u64_e64 v[36:37], v[28:29]
	s_cbranch_execz .LBB2_64
; %bb.61:                               ;   in Loop: Header=BB2_3 Depth=1
	s_mov_b32 s5, 0
.LBB2_62:                               ;   Parent Loop BB2_3 Depth=1
                                        ; =>  This Inner Loop Header: Depth=2
	s_sleep 1
	s_clause 0x1
	global_load_b64 v[26:27], v7, s[2:3] offset:40
	global_load_b64 v[38:39], v7, s[2:3]
	v_mov_b64_e32 v[28:29], v[36:37]
	s_wait_loadcnt 0x1
	s_delay_alu instid0(VALU_DEP_1) | instskip(SKIP_1) | instid1(VALU_DEP_1)
	v_and_b32_e32 v0, v26, v28
	s_wait_loadcnt 0x0
	v_mad_nc_u64_u32 v[36:37], v0, 24, v[38:39]
	s_delay_alu instid0(VALU_DEP_3) | instskip(NEXT) | instid1(VALU_DEP_1)
	v_and_b32_e32 v0, v27, v29
	v_mad_u32 v37, v0, 24, v37
	global_load_b64 v[26:27], v[36:37], off scope:SCOPE_SYS
	s_wait_xcnt 0x0
	s_wait_loadcnt 0x0
	global_atomic_cmpswap_b64 v[36:37], v7, v[26:29], s[2:3] offset:24 th:TH_ATOMIC_RETURN scope:SCOPE_SYS
	s_wait_loadcnt 0x0
	global_inv scope:SCOPE_SYS
	v_cmp_eq_u64_e32 vcc_lo, v[36:37], v[28:29]
	s_or_b32 s5, vcc_lo, s5
	s_wait_xcnt 0x0
	s_and_not1_b32 exec_lo, exec_lo, s5
	s_cbranch_execnz .LBB2_62
; %bb.63:                               ;   in Loop: Header=BB2_3 Depth=1
	s_or_b32 exec_lo, exec_lo, s5
.LBB2_64:                               ;   in Loop: Header=BB2_3 Depth=1
	s_delay_alu instid0(SALU_CYCLE_1)
	s_or_b32 exec_lo, exec_lo, s4
.LBB2_65:                               ;   in Loop: Header=BB2_3 Depth=1
	s_delay_alu instid0(SALU_CYCLE_1)
	s_or_b32 exec_lo, exec_lo, s1
	s_wait_kmcnt 0x0
	s_clause 0x1
	global_load_b64 v[38:39], v7, s[2:3] offset:40
	global_load_b128 v[26:29], v7, s[2:3]
	v_readfirstlane_b32 s4, v36
	v_readfirstlane_b32 s5, v37
	s_mov_b32 s1, exec_lo
	s_wait_loadcnt 0x1
	v_and_b32_e32 v38, s4, v38
	v_and_b32_e32 v39, s5, v39
	s_delay_alu instid0(VALU_DEP_1) | instskip(SKIP_1) | instid1(VALU_DEP_1)
	v_mul_u64_e32 v[36:37], 24, v[38:39]
	s_wait_loadcnt 0x0
	v_add_nc_u64_e32 v[36:37], v[26:27], v[36:37]
	s_wait_xcnt 0x0
	s_and_saveexec_b32 s10, s0
	s_cbranch_execz .LBB2_67
; %bb.66:                               ;   in Loop: Header=BB2_3 Depth=1
	v_mov_b32_e32 v6, s1
	global_store_b128 v[36:37], v[6:9], off offset:8
.LBB2_67:                               ;   in Loop: Header=BB2_3 Depth=1
	s_wait_xcnt 0x0
	s_or_b32 exec_lo, exec_lo, s10
	v_cmp_gt_u64_e32 vcc_lo, 57, v[4:5]
	v_lshlrev_b64_e32 v[38:39], 12, v[38:39]
	v_and_b32_e32 v6, 0xffffff1f, v10
	v_lshl_add_u32 v10, v34, 2, 28
	v_cndmask_b32_e32 v0, 0, v2, vcc_lo
	s_delay_alu instid0(VALU_DEP_4) | instskip(NEXT) | instid1(VALU_DEP_2)
	v_add_nc_u64_e32 v[28:29], v[28:29], v[38:39]
	v_dual_lshlrev_b32 v6, 6, v30 :: v_dual_bitop2_b32 v0, v6, v0 bitop3:0x54
	s_delay_alu instid0(VALU_DEP_2) | instskip(NEXT) | instid1(VALU_DEP_3)
	v_readfirstlane_b32 s10, v28
	v_readfirstlane_b32 s11, v29
	s_delay_alu instid0(VALU_DEP_3)
	v_and_or_b32 v10, 0x1e0, v10, v0
	s_clause 0x3
	global_store_b128 v6, v[10:13], s[10:11]
	global_store_b128 v6, v[14:17], s[10:11] offset:16
	global_store_b128 v6, v[18:21], s[10:11] offset:32
	;; [unrolled: 1-line block ×3, first 2 shown]
	s_wait_xcnt 0x0
	s_and_saveexec_b32 s1, s0
	s_cbranch_execz .LBB2_75
; %bb.68:                               ;   in Loop: Header=BB2_3 Depth=1
	s_clause 0x1
	global_load_b64 v[18:19], v7, s[2:3] offset:32 scope:SCOPE_SYS
	global_load_b64 v[10:11], v7, s[2:3] offset:40
	s_mov_b32 s10, exec_lo
	v_dual_mov_b32 v16, s4 :: v_dual_mov_b32 v17, s5
	s_wait_loadcnt 0x0
	v_and_b32_e32 v11, s5, v11
	v_and_b32_e32 v10, s4, v10
	s_delay_alu instid0(VALU_DEP_1) | instskip(NEXT) | instid1(VALU_DEP_1)
	v_mul_u64_e32 v[10:11], 24, v[10:11]
	v_add_nc_u64_e32 v[14:15], v[26:27], v[10:11]
	global_store_b64 v[14:15], v[18:19], off
	global_wb scope:SCOPE_SYS
	s_wait_storecnt 0x0
	s_wait_xcnt 0x0
	global_atomic_cmpswap_b64 v[12:13], v7, v[16:19], s[2:3] offset:32 th:TH_ATOMIC_RETURN scope:SCOPE_SYS
	s_wait_loadcnt 0x0
	v_cmpx_ne_u64_e64 v[12:13], v[18:19]
	s_cbranch_execz .LBB2_71
; %bb.69:                               ;   in Loop: Header=BB2_3 Depth=1
	s_mov_b32 s11, 0
.LBB2_70:                               ;   Parent Loop BB2_3 Depth=1
                                        ; =>  This Inner Loop Header: Depth=2
	v_dual_mov_b32 v10, s4 :: v_dual_mov_b32 v11, s5
	s_sleep 1
	global_store_b64 v[14:15], v[12:13], off
	global_wb scope:SCOPE_SYS
	s_wait_storecnt 0x0
	s_wait_xcnt 0x0
	global_atomic_cmpswap_b64 v[10:11], v7, v[10:13], s[2:3] offset:32 th:TH_ATOMIC_RETURN scope:SCOPE_SYS
	s_wait_loadcnt 0x0
	v_cmp_eq_u64_e32 vcc_lo, v[10:11], v[12:13]
	v_mov_b64_e32 v[12:13], v[10:11]
	s_or_b32 s11, vcc_lo, s11
	s_delay_alu instid0(SALU_CYCLE_1)
	s_and_not1_b32 exec_lo, exec_lo, s11
	s_cbranch_execnz .LBB2_70
.LBB2_71:                               ;   in Loop: Header=BB2_3 Depth=1
	s_or_b32 exec_lo, exec_lo, s10
	global_load_b64 v[10:11], v7, s[2:3] offset:16
	s_mov_b32 s11, exec_lo
	s_mov_b32 s10, exec_lo
	v_mbcnt_lo_u32_b32 v0, s11, 0
	s_wait_xcnt 0x0
	s_delay_alu instid0(VALU_DEP_1)
	v_cmpx_eq_u32_e32 0, v0
	s_cbranch_execz .LBB2_73
; %bb.72:                               ;   in Loop: Header=BB2_3 Depth=1
	s_bcnt1_i32_b32 s11, s11
	s_delay_alu instid0(SALU_CYCLE_1)
	v_dual_mov_b32 v13, v7 :: v_dual_mov_b32 v12, s11
	global_wb scope:SCOPE_SYS
	s_wait_loadcnt 0x0
	s_wait_storecnt 0x0
	global_atomic_add_u64 v[10:11], v[12:13], off offset:8 scope:SCOPE_SYS
.LBB2_73:                               ;   in Loop: Header=BB2_3 Depth=1
	s_wait_xcnt 0x0
	s_or_b32 exec_lo, exec_lo, s10
	s_wait_loadcnt 0x0
	global_load_b64 v[12:13], v[10:11], off offset:16
	s_wait_loadcnt 0x0
	v_cmp_eq_u64_e32 vcc_lo, 0, v[12:13]
	s_cbranch_vccnz .LBB2_75
; %bb.74:                               ;   in Loop: Header=BB2_3 Depth=1
	global_load_b32 v10, v[10:11], off offset:24
	s_wait_xcnt 0x0
	v_mov_b32_e32 v11, v7
	s_wait_loadcnt 0x0
	v_readfirstlane_b32 s10, v10
	global_wb scope:SCOPE_SYS
	s_wait_storecnt 0x0
	global_store_b64 v[12:13], v[10:11], off scope:SCOPE_SYS
	s_and_b32 m0, s10, 0xffffff
	s_sendmsg sendmsg(MSG_INTERRUPT)
.LBB2_75:                               ;   in Loop: Header=BB2_3 Depth=1
	s_wait_xcnt 0x0
	s_or_b32 exec_lo, exec_lo, s1
	v_add_nc_u64_e32 v[10:11], v[28:29], v[6:7]
	s_branch .LBB2_79
.LBB2_76:                               ;   in Loop: Header=BB2_79 Depth=2
	s_wait_xcnt 0x0
	s_or_b32 exec_lo, exec_lo, s1
	s_delay_alu instid0(VALU_DEP_1)
	v_readfirstlane_b32 s1, v0
	s_cmp_eq_u32 s1, 0
	s_cbranch_scc1 .LBB2_78
; %bb.77:                               ;   in Loop: Header=BB2_79 Depth=2
	s_sleep 1
	s_cbranch_execnz .LBB2_79
	s_branch .LBB2_81
.LBB2_78:                               ;   in Loop: Header=BB2_3 Depth=1
	s_branch .LBB2_81
.LBB2_79:                               ;   Parent Loop BB2_3 Depth=1
                                        ; =>  This Inner Loop Header: Depth=2
	v_mov_b32_e32 v0, 1
	s_and_saveexec_b32 s1, s0
	s_cbranch_execz .LBB2_76
; %bb.80:                               ;   in Loop: Header=BB2_79 Depth=2
	global_load_b32 v0, v[36:37], off offset:20 scope:SCOPE_SYS
	s_wait_loadcnt 0x0
	global_inv scope:SCOPE_SYS
	v_and_b32_e32 v0, 1, v0
	s_branch .LBB2_76
.LBB2_81:                               ;   in Loop: Header=BB2_3 Depth=1
	global_load_b128 v[10:13], v[10:11], off
	s_wait_xcnt 0x0
	s_and_saveexec_b32 s10, s0
	s_cbranch_execz .LBB2_2
; %bb.82:                               ;   in Loop: Header=BB2_3 Depth=1
	s_wait_loadcnt 0x0
	s_clause 0x2
	global_load_b64 v[12:13], v7, s[2:3] offset:40
	global_load_b64 v[20:21], v7, s[2:3] offset:24 scope:SCOPE_SYS
	global_load_b64 v[14:15], v7, s[2:3]
	s_wait_loadcnt 0x2
	v_readfirstlane_b32 s12, v12
	v_readfirstlane_b32 s13, v13
	s_add_nc_u64 s[0:1], s[12:13], 1
	s_delay_alu instid0(SALU_CYCLE_1) | instskip(NEXT) | instid1(SALU_CYCLE_1)
	s_add_nc_u64 s[4:5], s[0:1], s[4:5]
	s_cmp_eq_u64 s[4:5], 0
	s_cselect_b32 s1, s1, s5
	s_cselect_b32 s0, s0, s4
	s_delay_alu instid0(SALU_CYCLE_1) | instskip(SKIP_1) | instid1(SALU_CYCLE_1)
	v_dual_mov_b32 v19, s1 :: v_dual_mov_b32 v18, s0
	s_and_b64 s[4:5], s[0:1], s[12:13]
	s_mul_u64 s[4:5], s[4:5], 24
	s_wait_loadcnt 0x0
	v_add_nc_u64_e32 v[16:17], s[4:5], v[14:15]
	global_store_b64 v[16:17], v[20:21], off
	global_wb scope:SCOPE_SYS
	s_wait_storecnt 0x0
	s_wait_xcnt 0x0
	global_atomic_cmpswap_b64 v[14:15], v7, v[18:21], s[2:3] offset:24 th:TH_ATOMIC_RETURN scope:SCOPE_SYS
	s_wait_loadcnt 0x0
	v_cmp_ne_u64_e32 vcc_lo, v[14:15], v[20:21]
	s_and_b32 exec_lo, exec_lo, vcc_lo
	s_cbranch_execz .LBB2_2
; %bb.83:                               ;   in Loop: Header=BB2_3 Depth=1
	s_mov_b32 s4, 0
.LBB2_84:                               ;   Parent Loop BB2_3 Depth=1
                                        ; =>  This Inner Loop Header: Depth=2
	v_dual_mov_b32 v12, s0 :: v_dual_mov_b32 v13, s1
	s_sleep 1
	global_store_b64 v[16:17], v[14:15], off
	global_wb scope:SCOPE_SYS
	s_wait_storecnt 0x0
	s_wait_xcnt 0x0
	global_atomic_cmpswap_b64 v[12:13], v7, v[12:15], s[2:3] offset:24 th:TH_ATOMIC_RETURN scope:SCOPE_SYS
	s_wait_loadcnt 0x0
	v_cmp_eq_u64_e32 vcc_lo, v[12:13], v[14:15]
	v_mov_b64_e32 v[14:15], v[12:13]
	s_or_b32 s4, vcc_lo, s4
	s_delay_alu instid0(SALU_CYCLE_1)
	s_and_not1_b32 exec_lo, exec_lo, s4
	s_cbranch_execnz .LBB2_84
	s_branch .LBB2_2
.LBB2_85:
	s_or_b32 exec_lo, exec_lo, s7
	s_branch .LBB2_114
.LBB2_86:
	s_load_b64 s[2:3], s[8:9], 0x50
	v_readfirstlane_b32 s0, v30
	v_mov_b64_e32 v[8:9], 0
	s_delay_alu instid0(VALU_DEP_2)
	v_cmp_eq_u32_e64 s0, s0, v30
	s_and_saveexec_b32 s1, s0
	s_cbranch_execz .LBB2_92
; %bb.87:
	v_mov_b32_e32 v0, 0
	s_mov_b32 s4, exec_lo
	s_wait_kmcnt 0x0
	global_load_b64 v[6:7], v0, s[2:3] offset:24 scope:SCOPE_SYS
	s_wait_loadcnt 0x0
	global_inv scope:SCOPE_SYS
	s_clause 0x1
	global_load_b64 v[4:5], v0, s[2:3] offset:40
	global_load_b64 v[8:9], v0, s[2:3]
	s_wait_loadcnt 0x1
	v_and_b32_e32 v4, v4, v6
	v_and_b32_e32 v5, v5, v7
	s_delay_alu instid0(VALU_DEP_1) | instskip(SKIP_1) | instid1(VALU_DEP_1)
	v_mul_u64_e32 v[4:5], 24, v[4:5]
	s_wait_loadcnt 0x0
	v_add_nc_u64_e32 v[4:5], v[8:9], v[4:5]
	global_load_b64 v[4:5], v[4:5], off scope:SCOPE_SYS
	s_wait_xcnt 0x0
	s_wait_loadcnt 0x0
	global_atomic_cmpswap_b64 v[8:9], v0, v[4:7], s[2:3] offset:24 th:TH_ATOMIC_RETURN scope:SCOPE_SYS
	s_wait_loadcnt 0x0
	global_inv scope:SCOPE_SYS
	s_wait_xcnt 0x0
	v_cmpx_ne_u64_e64 v[8:9], v[6:7]
	s_cbranch_execz .LBB2_91
; %bb.88:
	s_mov_b32 s5, 0
.LBB2_89:                               ; =>This Inner Loop Header: Depth=1
	s_sleep 1
	s_clause 0x1
	global_load_b64 v[4:5], v0, s[2:3] offset:40
	global_load_b64 v[10:11], v0, s[2:3]
	v_mov_b64_e32 v[6:7], v[8:9]
	s_wait_loadcnt 0x1
	s_delay_alu instid0(VALU_DEP_1) | instskip(SKIP_1) | instid1(VALU_DEP_1)
	v_and_b32_e32 v2, v4, v6
	s_wait_loadcnt 0x0
	v_mad_nc_u64_u32 v[8:9], v2, 24, v[10:11]
	s_delay_alu instid0(VALU_DEP_3) | instskip(NEXT) | instid1(VALU_DEP_1)
	v_and_b32_e32 v2, v5, v7
	v_mad_u32 v9, v2, 24, v9
	global_load_b64 v[4:5], v[8:9], off scope:SCOPE_SYS
	s_wait_xcnt 0x0
	s_wait_loadcnt 0x0
	global_atomic_cmpswap_b64 v[8:9], v0, v[4:7], s[2:3] offset:24 th:TH_ATOMIC_RETURN scope:SCOPE_SYS
	s_wait_loadcnt 0x0
	global_inv scope:SCOPE_SYS
	v_cmp_eq_u64_e32 vcc_lo, v[8:9], v[6:7]
	s_or_b32 s5, vcc_lo, s5
	s_wait_xcnt 0x0
	s_and_not1_b32 exec_lo, exec_lo, s5
	s_cbranch_execnz .LBB2_89
; %bb.90:
	s_or_b32 exec_lo, exec_lo, s5
.LBB2_91:
	s_delay_alu instid0(SALU_CYCLE_1)
	s_or_b32 exec_lo, exec_lo, s4
.LBB2_92:
	s_delay_alu instid0(SALU_CYCLE_1)
	s_or_b32 exec_lo, exec_lo, s1
	v_readfirstlane_b32 s4, v8
	v_mov_b32_e32 v2, 0
	v_readfirstlane_b32 s5, v9
	s_mov_b32 s1, exec_lo
	s_wait_loadcnt 0x0
	s_wait_kmcnt 0x0
	s_clause 0x1
	global_load_b64 v[10:11], v2, s[2:3] offset:40
	global_load_b128 v[4:7], v2, s[2:3]
	s_wait_loadcnt 0x1
	v_and_b32_e32 v10, s4, v10
	v_and_b32_e32 v11, s5, v11
	s_delay_alu instid0(VALU_DEP_1) | instskip(SKIP_1) | instid1(VALU_DEP_1)
	v_mul_u64_e32 v[8:9], 24, v[10:11]
	s_wait_loadcnt 0x0
	v_add_nc_u64_e32 v[8:9], v[4:5], v[8:9]
	s_wait_xcnt 0x0
	s_and_saveexec_b32 s6, s0
	s_cbranch_execz .LBB2_94
; %bb.93:
	v_mov_b64_e32 v[14:15], 0x100000002
	v_dual_mov_b32 v12, s1 :: v_dual_mov_b32 v13, v2
	global_store_b128 v[8:9], v[12:15], off offset:8
.LBB2_94:
	s_wait_xcnt 0x0
	s_or_b32 exec_lo, exec_lo, s6
	v_lshlrev_b64_e32 v[10:11], 12, v[10:11]
	s_mov_b32 s8, 0
	v_and_or_b32 v0, 0xffffff1f, v3, 32
	s_mov_b32 s10, s8
	s_mov_b32 s11, s8
	;; [unrolled: 1-line block ×3, first 2 shown]
	v_dual_mov_b32 v3, v2 :: v_dual_lshlrev_b32 v14, 6, v30
	v_add_nc_u64_e32 v[6:7], v[6:7], v[10:11]
	v_mov_b64_e32 v[12:13], s[10:11]
	v_mov_b64_e32 v[10:11], s[8:9]
	s_delay_alu instid0(VALU_DEP_3) | instskip(NEXT) | instid1(VALU_DEP_4)
	v_readfirstlane_b32 s6, v6
	v_readfirstlane_b32 s7, v7
	s_clause 0x3
	global_store_b128 v14, v[0:3], s[6:7]
	global_store_b128 v14, v[10:13], s[6:7] offset:16
	global_store_b128 v14, v[10:13], s[6:7] offset:32
	;; [unrolled: 1-line block ×3, first 2 shown]
	s_wait_xcnt 0x0
	s_and_saveexec_b32 s1, s0
	s_cbranch_execz .LBB2_102
; %bb.95:
	v_dual_mov_b32 v6, 0 :: v_dual_mov_b32 v11, s5
	s_mov_b32 s6, exec_lo
	s_clause 0x1
	global_load_b64 v[12:13], v6, s[2:3] offset:32 scope:SCOPE_SYS
	global_load_b64 v[0:1], v6, s[2:3] offset:40
	s_wait_loadcnt 0x0
	v_dual_mov_b32 v10, s4 :: v_dual_bitop2_b32 v1, s5, v1 bitop3:0x40
	v_and_b32_e32 v0, s4, v0
	s_delay_alu instid0(VALU_DEP_1) | instskip(NEXT) | instid1(VALU_DEP_1)
	v_mul_u64_e32 v[0:1], 24, v[0:1]
	v_add_nc_u64_e32 v[4:5], v[4:5], v[0:1]
	global_store_b64 v[4:5], v[12:13], off
	global_wb scope:SCOPE_SYS
	s_wait_storecnt 0x0
	s_wait_xcnt 0x0
	global_atomic_cmpswap_b64 v[2:3], v6, v[10:13], s[2:3] offset:32 th:TH_ATOMIC_RETURN scope:SCOPE_SYS
	s_wait_loadcnt 0x0
	v_cmpx_ne_u64_e64 v[2:3], v[12:13]
	s_cbranch_execz .LBB2_98
; %bb.96:
	s_mov_b32 s7, 0
.LBB2_97:                               ; =>This Inner Loop Header: Depth=1
	v_dual_mov_b32 v0, s4 :: v_dual_mov_b32 v1, s5
	s_sleep 1
	global_store_b64 v[4:5], v[2:3], off
	global_wb scope:SCOPE_SYS
	s_wait_storecnt 0x0
	s_wait_xcnt 0x0
	global_atomic_cmpswap_b64 v[0:1], v6, v[0:3], s[2:3] offset:32 th:TH_ATOMIC_RETURN scope:SCOPE_SYS
	s_wait_loadcnt 0x0
	v_cmp_eq_u64_e32 vcc_lo, v[0:1], v[2:3]
	v_mov_b64_e32 v[2:3], v[0:1]
	s_or_b32 s7, vcc_lo, s7
	s_delay_alu instid0(SALU_CYCLE_1)
	s_and_not1_b32 exec_lo, exec_lo, s7
	s_cbranch_execnz .LBB2_97
.LBB2_98:
	s_or_b32 exec_lo, exec_lo, s6
	v_mov_b32_e32 v3, 0
	s_mov_b32 s7, exec_lo
	s_mov_b32 s6, exec_lo
	v_mbcnt_lo_u32_b32 v2, s7, 0
	global_load_b64 v[0:1], v3, s[2:3] offset:16
	s_wait_xcnt 0x0
	v_cmpx_eq_u32_e32 0, v2
	s_cbranch_execz .LBB2_100
; %bb.99:
	s_bcnt1_i32_b32 s7, s7
	s_delay_alu instid0(SALU_CYCLE_1)
	v_mov_b32_e32 v2, s7
	global_wb scope:SCOPE_SYS
	s_wait_loadcnt 0x0
	s_wait_storecnt 0x0
	global_atomic_add_u64 v[0:1], v[2:3], off offset:8 scope:SCOPE_SYS
.LBB2_100:
	s_wait_xcnt 0x0
	s_or_b32 exec_lo, exec_lo, s6
	s_wait_loadcnt 0x0
	global_load_b64 v[2:3], v[0:1], off offset:16
	s_wait_loadcnt 0x0
	v_cmp_eq_u64_e32 vcc_lo, 0, v[2:3]
	s_cbranch_vccnz .LBB2_102
; %bb.101:
	global_load_b32 v0, v[0:1], off offset:24
	s_wait_xcnt 0x0
	v_mov_b32_e32 v1, 0
	s_wait_loadcnt 0x0
	v_readfirstlane_b32 s6, v0
	global_wb scope:SCOPE_SYS
	s_wait_storecnt 0x0
	global_store_b64 v[2:3], v[0:1], off scope:SCOPE_SYS
	s_and_b32 m0, s6, 0xffffff
	s_sendmsg sendmsg(MSG_INTERRUPT)
.LBB2_102:
	s_wait_xcnt 0x0
	s_or_b32 exec_lo, exec_lo, s1
	s_branch .LBB2_106
.LBB2_103:                              ;   in Loop: Header=BB2_106 Depth=1
	s_wait_xcnt 0x0
	s_or_b32 exec_lo, exec_lo, s1
	s_delay_alu instid0(VALU_DEP_1)
	v_readfirstlane_b32 s1, v0
	s_cmp_eq_u32 s1, 0
	s_cbranch_scc1 .LBB2_105
; %bb.104:                              ;   in Loop: Header=BB2_106 Depth=1
	s_sleep 1
	s_cbranch_execnz .LBB2_106
	s_branch .LBB2_108
.LBB2_105:
	s_branch .LBB2_108
.LBB2_106:                              ; =>This Inner Loop Header: Depth=1
	v_mov_b32_e32 v0, 1
	s_and_saveexec_b32 s1, s0
	s_cbranch_execz .LBB2_103
; %bb.107:                              ;   in Loop: Header=BB2_106 Depth=1
	global_load_b32 v0, v[8:9], off offset:20 scope:SCOPE_SYS
	s_wait_loadcnt 0x0
	global_inv scope:SCOPE_SYS
	v_and_b32_e32 v0, 1, v0
	s_branch .LBB2_103
.LBB2_108:
	s_and_saveexec_b32 s6, s0
	s_cbranch_execz .LBB2_112
; %bb.109:
	v_mov_b32_e32 v6, 0
	s_clause 0x2
	global_load_b64 v[0:1], v6, s[2:3] offset:40
	global_load_b64 v[10:11], v6, s[2:3] offset:24 scope:SCOPE_SYS
	global_load_b64 v[2:3], v6, s[2:3]
	s_wait_loadcnt 0x2
	v_readfirstlane_b32 s8, v0
	v_readfirstlane_b32 s9, v1
	s_add_nc_u64 s[0:1], s[8:9], 1
	s_delay_alu instid0(SALU_CYCLE_1) | instskip(NEXT) | instid1(SALU_CYCLE_1)
	s_add_nc_u64 s[4:5], s[0:1], s[4:5]
	s_cmp_eq_u64 s[4:5], 0
	s_cselect_b32 s1, s1, s5
	s_cselect_b32 s0, s0, s4
	v_mov_b32_e32 v9, s1
	s_and_b64 s[4:5], s[0:1], s[8:9]
	v_mov_b32_e32 v8, s0
	s_mul_u64 s[4:5], s[4:5], 24
	s_wait_loadcnt 0x0
	v_add_nc_u64_e32 v[4:5], s[4:5], v[2:3]
	global_store_b64 v[4:5], v[10:11], off
	global_wb scope:SCOPE_SYS
	s_wait_storecnt 0x0
	s_wait_xcnt 0x0
	global_atomic_cmpswap_b64 v[2:3], v6, v[8:11], s[2:3] offset:24 th:TH_ATOMIC_RETURN scope:SCOPE_SYS
	s_wait_loadcnt 0x0
	v_cmp_ne_u64_e32 vcc_lo, v[2:3], v[10:11]
	s_and_b32 exec_lo, exec_lo, vcc_lo
	s_cbranch_execz .LBB2_112
; %bb.110:
	s_mov_b32 s4, 0
.LBB2_111:                              ; =>This Inner Loop Header: Depth=1
	v_dual_mov_b32 v0, s0 :: v_dual_mov_b32 v1, s1
	s_sleep 1
	global_store_b64 v[4:5], v[2:3], off
	global_wb scope:SCOPE_SYS
	s_wait_storecnt 0x0
	s_wait_xcnt 0x0
	global_atomic_cmpswap_b64 v[0:1], v6, v[0:3], s[2:3] offset:24 th:TH_ATOMIC_RETURN scope:SCOPE_SYS
	s_wait_loadcnt 0x0
	v_cmp_eq_u64_e32 vcc_lo, v[0:1], v[2:3]
	v_mov_b64_e32 v[2:3], v[0:1]
	s_or_b32 s4, vcc_lo, s4
	s_delay_alu instid0(SALU_CYCLE_1)
	s_and_not1_b32 exec_lo, exec_lo, s4
	s_cbranch_execnz .LBB2_111
.LBB2_112:
	s_or_b32 exec_lo, exec_lo, s6
	s_wait_loadcnt 0x0
	s_wait_kmcnt 0x0
	s_set_pc_i64 s[30:31]
.LBB2_113:
	s_cbranch_execnz .LBB2_86
.LBB2_114:
	s_wait_loadcnt 0x0
	s_wait_kmcnt 0x0
	s_set_pc_i64 s[30:31]
.Lfunc_end2:
	.size	__ockl_fprintf_append_string_n, .Lfunc_end2-__ockl_fprintf_append_string_n
                                        ; -- End function
	.set .L__ockl_fprintf_append_string_n.num_vgpr, 40
	.set .L__ockl_fprintf_append_string_n.num_agpr, 0
	.set .L__ockl_fprintf_append_string_n.numbered_sgpr, 32
	.set .L__ockl_fprintf_append_string_n.num_named_barrier, 0
	.set .L__ockl_fprintf_append_string_n.private_seg_size, 0
	.set .L__ockl_fprintf_append_string_n.uses_vcc, 1
	.set .L__ockl_fprintf_append_string_n.uses_flat_scratch, 0
	.set .L__ockl_fprintf_append_string_n.has_dyn_sized_stack, 0
	.set .L__ockl_fprintf_append_string_n.has_recursion, 0
	.set .L__ockl_fprintf_append_string_n.has_indirect_call, 0
	.section	.AMDGPU.csdata,"",@progbits
; Function info:
; codeLenInByte = 4324
; TotalNumSgprs: 34
; NumVgprs: 40
; ScratchSize: 0
; MemoryBound: 0
	.text
	.p2align	2                               ; -- Begin function __assert_fail
	.type	__assert_fail,@function
__assert_fail:                          ; @__assert_fail
; %bb.0:
	s_wait_loadcnt_dscnt 0x0
	s_wait_kmcnt 0x0
	s_mov_b32 s20, s33
	s_mov_b32 s33, s32
	s_or_saveexec_b32 s0, -1
	scratch_store_b32 off, v40, s33 offset:48 ; 4-byte Folded Spill
	s_wait_xcnt 0x0
	s_mov_b32 exec_lo, s0
	v_writelane_b32 v40, s30, 0
	s_add_co_i32 s32, s32, 64
	v_writelane_b32 v40, s31, 1
	v_mov_b32_e32 v8, 0
	s_get_pc_i64 s[0:1]
	s_add_nc_u64 s[0:1], s[0:1], __const.__assert_fail.fmt@rel64+35
	v_dual_mov_b32 v5, v1 :: v_dual_mov_b32 v4, v0
	s_get_pc_i64 s[10:11]
	s_add_nc_u64 s[10:11], s[10:11], __const.__assert_fail.fmt@rel64+20
	global_load_b128 v[0:3], v8, s[0:1]
	s_wait_xcnt 0x0
	s_get_pc_i64 s[0:1]
	s_add_nc_u64 s[0:1], s[0:1], __const.__assert_fail.fmt@rel64+4
	s_clause 0x1
	s_load_b128 s[4:7], s[0:1], 0x0
	s_load_b128 s[12:15], s[10:11], 0x0
	s_load_b64 s[2:3], s[8:9], 0x50
	v_mbcnt_lo_u32_b32 v48, -1, 0
	v_mov_b64_e32 v[6:7], 0
	s_wait_xcnt 0x0
	s_delay_alu instid0(VALU_DEP_2) | instskip(NEXT) | instid1(VALU_DEP_1)
	v_readfirstlane_b32 s0, v48
	v_cmp_eq_u32_e64 s0, s0, v48
	s_wait_kmcnt 0x0
	v_mov_b64_e32 v[12:13], s[6:7]
	v_mov_b64_e32 v[10:11], s[4:5]
	;; [unrolled: 1-line block ×4, first 2 shown]
	s_clause 0x1
	scratch_store_b128 off, v[10:13], s33
	scratch_store_b128 off, v[14:17], s33 offset:16
	s_wait_loadcnt 0x0
	scratch_store_b128 off, v[0:3], s33 offset:31
	s_wait_xcnt 0x0
	s_and_saveexec_b32 s1, s0
	s_cbranch_execz .LBB3_6
; %bb.1:
	global_load_b64 v[2:3], v8, s[2:3] offset:24 scope:SCOPE_SYS
	s_wait_loadcnt 0x0
	global_inv scope:SCOPE_SYS
	s_clause 0x1
	global_load_b64 v[0:1], v8, s[2:3] offset:40
	global_load_b64 v[6:7], v8, s[2:3]
	s_mov_b32 s4, exec_lo
	s_wait_loadcnt 0x1
	v_and_b32_e32 v0, v0, v2
	v_and_b32_e32 v1, v1, v3
	s_delay_alu instid0(VALU_DEP_1) | instskip(SKIP_1) | instid1(VALU_DEP_1)
	v_mul_u64_e32 v[0:1], 24, v[0:1]
	s_wait_loadcnt 0x0
	v_add_nc_u64_e32 v[0:1], v[6:7], v[0:1]
	global_load_b64 v[0:1], v[0:1], off scope:SCOPE_SYS
	s_wait_xcnt 0x0
	s_wait_loadcnt 0x0
	global_atomic_cmpswap_b64 v[6:7], v8, v[0:3], s[2:3] offset:24 th:TH_ATOMIC_RETURN scope:SCOPE_SYS
	s_wait_loadcnt 0x0
	global_inv scope:SCOPE_SYS
	s_wait_xcnt 0x0
	v_cmpx_ne_u64_e64 v[6:7], v[2:3]
	s_cbranch_execz .LBB3_5
; %bb.2:
	v_mov_b32_e32 v0, 0
	s_mov_b32 s5, 0
.LBB3_3:                                ; =>This Inner Loop Header: Depth=1
	s_sleep 1
	s_clause 0x1
	global_load_b64 v[2:3], v0, s[2:3] offset:40
	global_load_b64 v[10:11], v0, s[2:3]
	v_mov_b64_e32 v[12:13], v[6:7]
	s_wait_loadcnt 0x1
	s_delay_alu instid0(VALU_DEP_1) | instskip(SKIP_1) | instid1(VALU_DEP_1)
	v_and_b32_e32 v1, v2, v12
	s_wait_loadcnt 0x0
	v_mad_nc_u64_u32 v[6:7], v1, 24, v[10:11]
	s_delay_alu instid0(VALU_DEP_3) | instskip(NEXT) | instid1(VALU_DEP_1)
	v_and_b32_e32 v1, v3, v13
	v_mad_u32 v7, v1, 24, v7
	global_load_b64 v[10:11], v[6:7], off scope:SCOPE_SYS
	s_wait_xcnt 0x0
	s_wait_loadcnt 0x0
	global_atomic_cmpswap_b64 v[6:7], v0, v[10:13], s[2:3] offset:24 th:TH_ATOMIC_RETURN scope:SCOPE_SYS
	s_wait_loadcnt 0x0
	global_inv scope:SCOPE_SYS
	v_cmp_eq_u64_e32 vcc_lo, v[6:7], v[12:13]
	s_or_b32 s5, vcc_lo, s5
	s_wait_xcnt 0x0
	s_and_not1_b32 exec_lo, exec_lo, s5
	s_cbranch_execnz .LBB3_3
; %bb.4:
	s_or_b32 exec_lo, exec_lo, s5
.LBB3_5:
	s_delay_alu instid0(SALU_CYCLE_1)
	s_or_b32 exec_lo, exec_lo, s4
.LBB3_6:
	s_delay_alu instid0(SALU_CYCLE_1)
	s_or_b32 exec_lo, exec_lo, s1
	s_clause 0x1
	global_load_b64 v[10:11], v8, s[2:3] offset:40
	global_load_b128 v[0:3], v8, s[2:3]
	v_readfirstlane_b32 s4, v6
	v_readfirstlane_b32 s5, v7
	s_mov_b32 s1, exec_lo
	s_wait_loadcnt 0x1
	s_wait_xcnt 0x0
	v_and_b32_e32 v8, s4, v10
	v_and_b32_e32 v9, s5, v11
	s_delay_alu instid0(VALU_DEP_1) | instskip(SKIP_1) | instid1(VALU_DEP_1)
	v_mul_u64_e32 v[6:7], 24, v[8:9]
	s_wait_loadcnt 0x0
	v_add_nc_u64_e32 v[6:7], v[0:1], v[6:7]
	s_and_saveexec_b32 s6, s0
	s_cbranch_execz .LBB3_8
; %bb.7:
	v_mov_b64_e32 v[12:13], 0x100000002
	v_dual_mov_b32 v10, s1 :: v_dual_mov_b32 v11, 0
	global_store_b128 v[6:7], v[10:13], off offset:8
.LBB3_8:
	s_wait_xcnt 0x0
	s_or_b32 exec_lo, exec_lo, s6
	v_lshlrev_b64_e32 v[8:9], 12, v[8:9]
	s_mov_b32 s12, 0
	v_dual_mov_b32 v31, 0 :: v_dual_lshlrev_b32 v30, 6, v48
	s_mov_b32 s14, s12
	s_mov_b32 s15, s12
	;; [unrolled: 1-line block ×3, first 2 shown]
	s_delay_alu instid0(VALU_DEP_2)
	v_add_nc_u64_e32 v[8:9], v[2:3], v[8:9]
	v_mov_b64_e32 v[16:17], s[14:15]
	v_mov_b64_e32 v[14:15], s[12:13]
	v_dual_mov_b32 v10, 33 :: v_dual_mov_b32 v12, 1
	v_dual_mov_b32 v11, v31 :: v_dual_mov_b32 v13, v31
	v_readfirstlane_b32 s6, v8
	v_readfirstlane_b32 s7, v9
	s_clause 0x3
	global_store_b128 v30, v[10:13], s[6:7]
	global_store_b128 v30, v[14:17], s[6:7] offset:16
	global_store_b128 v30, v[14:17], s[6:7] offset:32
	global_store_b128 v30, v[14:17], s[6:7] offset:48
	s_wait_xcnt 0x0
	s_and_saveexec_b32 s1, s0
	s_cbranch_execz .LBB3_16
; %bb.9:
	s_clause 0x1
	global_load_b64 v[14:15], v31, s[2:3] offset:32 scope:SCOPE_SYS
	global_load_b64 v[2:3], v31, s[2:3] offset:40
	s_mov_b32 s6, exec_lo
	v_dual_mov_b32 v12, s4 :: v_dual_mov_b32 v13, s5
	s_wait_loadcnt 0x0
	v_and_b32_e32 v3, s5, v3
	v_and_b32_e32 v2, s4, v2
	s_delay_alu instid0(VALU_DEP_1) | instskip(NEXT) | instid1(VALU_DEP_1)
	v_mul_u64_e32 v[2:3], 24, v[2:3]
	v_add_nc_u64_e32 v[10:11], v[0:1], v[2:3]
	global_store_b64 v[10:11], v[14:15], off
	global_wb scope:SCOPE_SYS
	s_wait_storecnt 0x0
	s_wait_xcnt 0x0
	global_atomic_cmpswap_b64 v[2:3], v31, v[12:15], s[2:3] offset:32 th:TH_ATOMIC_RETURN scope:SCOPE_SYS
	s_wait_loadcnt 0x0
	v_cmpx_ne_u64_e64 v[2:3], v[14:15]
	s_cbranch_execz .LBB3_12
; %bb.10:
	v_mov_b32_e32 v12, 0
	s_mov_b32 s7, 0
.LBB3_11:                               ; =>This Inner Loop Header: Depth=1
	v_dual_mov_b32 v0, s4 :: v_dual_mov_b32 v1, s5
	s_sleep 1
	global_store_b64 v[10:11], v[2:3], off
	global_wb scope:SCOPE_SYS
	s_wait_storecnt 0x0
	s_wait_xcnt 0x0
	global_atomic_cmpswap_b64 v[0:1], v12, v[0:3], s[2:3] offset:32 th:TH_ATOMIC_RETURN scope:SCOPE_SYS
	s_wait_loadcnt 0x0
	v_cmp_eq_u64_e32 vcc_lo, v[0:1], v[2:3]
	v_mov_b64_e32 v[2:3], v[0:1]
	s_or_b32 s7, vcc_lo, s7
	s_delay_alu instid0(SALU_CYCLE_1)
	s_and_not1_b32 exec_lo, exec_lo, s7
	s_cbranch_execnz .LBB3_11
.LBB3_12:
	s_or_b32 exec_lo, exec_lo, s6
	v_mov_b32_e32 v3, 0
	s_mov_b32 s7, exec_lo
	s_mov_b32 s6, exec_lo
	v_mbcnt_lo_u32_b32 v2, s7, 0
	global_load_b64 v[0:1], v3, s[2:3] offset:16
	s_wait_xcnt 0x0
	v_cmpx_eq_u32_e32 0, v2
	s_cbranch_execz .LBB3_14
; %bb.13:
	s_bcnt1_i32_b32 s7, s7
	s_delay_alu instid0(SALU_CYCLE_1)
	v_mov_b32_e32 v2, s7
	global_wb scope:SCOPE_SYS
	s_wait_loadcnt 0x0
	s_wait_storecnt 0x0
	global_atomic_add_u64 v[0:1], v[2:3], off offset:8 scope:SCOPE_SYS
.LBB3_14:
	s_wait_xcnt 0x0
	s_or_b32 exec_lo, exec_lo, s6
	s_wait_loadcnt 0x0
	global_load_b64 v[2:3], v[0:1], off offset:16
	s_wait_loadcnt 0x0
	v_cmp_eq_u64_e32 vcc_lo, 0, v[2:3]
	s_cbranch_vccnz .LBB3_16
; %bb.15:
	global_load_b32 v0, v[0:1], off offset:24
	s_wait_xcnt 0x0
	v_mov_b32_e32 v1, 0
	s_wait_loadcnt 0x0
	v_readfirstlane_b32 s6, v0
	global_wb scope:SCOPE_SYS
	s_wait_storecnt 0x0
	global_store_b64 v[2:3], v[0:1], off scope:SCOPE_SYS
	s_and_b32 m0, s6, 0xffffff
	s_sendmsg sendmsg(MSG_INTERRUPT)
.LBB3_16:
	s_wait_xcnt 0x0
	s_or_b32 exec_lo, exec_lo, s1
	v_add_nc_u64_e32 v[0:1], v[8:9], v[30:31]
	s_branch .LBB3_20
.LBB3_17:                               ;   in Loop: Header=BB3_20 Depth=1
	s_wait_xcnt 0x0
	s_or_b32 exec_lo, exec_lo, s1
	s_delay_alu instid0(VALU_DEP_1)
	v_readfirstlane_b32 s1, v2
	s_cmp_eq_u32 s1, 0
	s_cbranch_scc1 .LBB3_19
; %bb.18:                               ;   in Loop: Header=BB3_20 Depth=1
	s_sleep 1
	s_cbranch_execnz .LBB3_20
	s_branch .LBB3_22
.LBB3_19:
	s_branch .LBB3_22
.LBB3_20:                               ; =>This Inner Loop Header: Depth=1
	v_mov_b32_e32 v2, 1
	s_and_saveexec_b32 s1, s0
	s_cbranch_execz .LBB3_17
; %bb.21:                               ;   in Loop: Header=BB3_20 Depth=1
	global_load_b32 v2, v[6:7], off offset:20 scope:SCOPE_SYS
	s_wait_loadcnt 0x0
	global_inv scope:SCOPE_SYS
	v_and_b32_e32 v2, 1, v2
	s_branch .LBB3_17
.LBB3_22:
	global_load_b64 v[6:7], v[0:1], off
	s_wait_xcnt 0x0
	s_and_saveexec_b32 s6, s0
	s_cbranch_execz .LBB3_26
; %bb.23:
	v_mov_b32_e32 v10, 0
	s_clause 0x2
	global_load_b64 v[0:1], v10, s[2:3] offset:40
	global_load_b64 v[14:15], v10, s[2:3] offset:24 scope:SCOPE_SYS
	global_load_b64 v[2:3], v10, s[2:3]
	s_wait_loadcnt 0x2
	v_readfirstlane_b32 s10, v0
	v_readfirstlane_b32 s11, v1
	s_add_nc_u64 s[0:1], s[10:11], 1
	s_delay_alu instid0(SALU_CYCLE_1) | instskip(NEXT) | instid1(SALU_CYCLE_1)
	s_add_nc_u64 s[4:5], s[0:1], s[4:5]
	s_cmp_eq_u64 s[4:5], 0
	s_cselect_b32 s1, s1, s5
	s_cselect_b32 s0, s0, s4
	v_mov_b32_e32 v13, s1
	s_and_b64 s[4:5], s[0:1], s[10:11]
	v_mov_b32_e32 v12, s0
	s_mul_u64 s[4:5], s[4:5], 24
	s_wait_loadcnt 0x0
	v_add_nc_u64_e32 v[8:9], s[4:5], v[2:3]
	global_store_b64 v[8:9], v[14:15], off
	global_wb scope:SCOPE_SYS
	s_wait_storecnt 0x0
	s_wait_xcnt 0x0
	global_atomic_cmpswap_b64 v[2:3], v10, v[12:15], s[2:3] offset:24 th:TH_ATOMIC_RETURN scope:SCOPE_SYS
	s_wait_loadcnt 0x0
	v_cmp_ne_u64_e32 vcc_lo, v[2:3], v[14:15]
	s_and_b32 exec_lo, exec_lo, vcc_lo
	s_cbranch_execz .LBB3_26
; %bb.24:
	s_mov_b32 s4, 0
.LBB3_25:                               ; =>This Inner Loop Header: Depth=1
	v_dual_mov_b32 v0, s0 :: v_dual_mov_b32 v1, s1
	s_sleep 1
	global_store_b64 v[8:9], v[2:3], off
	global_wb scope:SCOPE_SYS
	s_wait_storecnt 0x0
	s_wait_xcnt 0x0
	global_atomic_cmpswap_b64 v[0:1], v10, v[0:3], s[2:3] offset:24 th:TH_ATOMIC_RETURN scope:SCOPE_SYS
	s_wait_loadcnt 0x0
	v_cmp_eq_u64_e32 vcc_lo, v[0:1], v[2:3]
	v_mov_b64_e32 v[2:3], v[0:1]
	s_or_b32 s4, vcc_lo, s4
	s_delay_alu instid0(SALU_CYCLE_1)
	s_and_not1_b32 exec_lo, exec_lo, s4
	s_cbranch_execnz .LBB3_25
.LBB3_26:
	s_or_b32 exec_lo, exec_lo, s6
	s_mov_b32 s1, s33
	s_mov_b32 s0, 0
.LBB3_27:                               ; =>This Inner Loop Header: Depth=1
	scratch_load_u8 v0, off, s1
	s_wait_xcnt 0x0
	s_add_co_i32 s1, s1, 1
	s_wait_loadcnt 0x0
	v_cmp_eq_u16_e32 vcc_lo, 0, v0
	v_mov_b32_e32 v0, s1
	s_or_b32 s0, vcc_lo, s0
	s_delay_alu instid0(SALU_CYCLE_1)
	s_and_not1_b32 exec_lo, exec_lo, s0
	s_cbranch_execnz .LBB3_27
; %bb.28:
	s_or_b32 exec_lo, exec_lo, s0
	s_cmp_lg_u32 s33, -1
	s_cbranch_scc0 .LBB3_113
; %bb.29:
	s_mov_b64 s[0:1], src_flat_scratch_base_lo
	v_mov_b64_e32 v[10:11], 0x100000002
	v_dual_add_nc_u32 v0, s0, v0 :: v_dual_bitop2_b32 v28, 2, v6 bitop3:0x40
	s_add_co_i32 s0, s33, s0
	v_dual_mov_b32 v31, 0 :: v_dual_mov_b32 v29, s33
	s_delay_alu instid0(VALU_DEP_2) | instskip(SKIP_3) | instid1(VALU_DEP_2)
	v_subrev_nc_u32_e32 v32, s0, v0
	v_dual_mov_b32 v1, v7 :: v_dual_bitop2_b32 v0, -3, v6 bitop3:0x40
	s_mov_b32 s7, 0
	s_mov_b32 s6, 0
	v_ashrrev_i32_e32 v33, 31, v32
	s_branch .LBB3_31
.LBB3_30:                               ;   in Loop: Header=BB3_31 Depth=1
	s_or_b32 exec_lo, exec_lo, s10
	v_sub_nc_u64_e32 v[32:33], v[32:33], v[34:35]
	v_add_nc_u32_e32 v29, v29, v34
	s_delay_alu instid0(VALU_DEP_2) | instskip(SKIP_1) | instid1(SALU_CYCLE_1)
	v_cmp_eq_u64_e32 vcc_lo, 0, v[32:33]
	s_or_b32 s6, vcc_lo, s6
	s_and_not1_b32 exec_lo, exec_lo, s6
	s_cbranch_execz .LBB3_192
.LBB3_31:                               ; =>This Loop Header: Depth=1
                                        ;     Child Loop BB3_34 Depth 2
                                        ;     Child Loop BB3_42 Depth 2
	;; [unrolled: 1-line block ×11, first 2 shown]
	s_delay_alu instid0(VALU_DEP_1)
	v_min_u64 v[34:35], v[32:33], 56
	v_add_nc_u32_e32 v9, 8, v29
	s_mov_b32 s0, exec_lo
	v_cmpx_gt_u64_e32 8, v[32:33]
	s_xor_b32 s4, exec_lo, s0
	s_cbranch_execz .LBB3_37
; %bb.32:                               ;   in Loop: Header=BB3_31 Depth=1
	v_mov_b64_e32 v[2:3], 0
	s_mov_b32 s5, exec_lo
	v_cmpx_ne_u64_e32 0, v[32:33]
	s_cbranch_execz .LBB3_36
; %bb.33:                               ;   in Loop: Header=BB3_31 Depth=1
	v_mov_b64_e32 v[2:3], 0
	v_dual_mov_b32 v9, v29 :: v_dual_lshlrev_b32 v8, 3, v34
	s_mov_b64 s[0:1], 0
	s_mov_b32 s10, 0
.LBB3_34:                               ;   Parent Loop BB3_31 Depth=1
                                        ; =>  This Inner Loop Header: Depth=2
	scratch_load_u8 v12, v9, off
	s_wait_xcnt 0x0
	v_dual_mov_b32 v13, s7 :: v_dual_add_nc_u32 v9, 1, v9
	s_wait_loadcnt 0x0
	v_and_b32_e32 v12, 0xffff, v12
	s_delay_alu instid0(VALU_DEP_1) | instskip(SKIP_1) | instid1(SALU_CYCLE_1)
	v_lshlrev_b64_e32 v[12:13], s0, v[12:13]
	s_add_nc_u64 s[0:1], s[0:1], 8
	v_cmp_eq_u32_e32 vcc_lo, s0, v8
	s_delay_alu instid0(VALU_DEP_2) | instskip(NEXT) | instid1(VALU_DEP_3)
	v_or_b32_e32 v3, v13, v3
	v_or_b32_e32 v2, v12, v2
	s_or_b32 s10, vcc_lo, s10
	s_delay_alu instid0(SALU_CYCLE_1)
	s_and_not1_b32 exec_lo, exec_lo, s10
	s_cbranch_execnz .LBB3_34
; %bb.35:                               ;   in Loop: Header=BB3_31 Depth=1
	s_or_b32 exec_lo, exec_lo, s10
.LBB3_36:                               ;   in Loop: Header=BB3_31 Depth=1
	s_delay_alu instid0(SALU_CYCLE_1)
	s_or_b32 exec_lo, exec_lo, s5
	v_mov_b32_e32 v9, v29
.LBB3_37:                               ;   in Loop: Header=BB3_31 Depth=1
	s_or_saveexec_b32 s0, s4
	v_mov_b32_e32 v14, 0
	s_xor_b32 exec_lo, exec_lo, s0
	s_cbranch_execz .LBB3_39
; %bb.38:                               ;   in Loop: Header=BB3_31 Depth=1
	scratch_load_b64 v[2:3], v29, off
	v_add_nc_u32_e32 v14, -8, v34
.LBB3_39:                               ;   in Loop: Header=BB3_31 Depth=1
	s_wait_xcnt 0x0
	s_or_b32 exec_lo, exec_lo, s0
	v_add_nc_u32_e32 v8, 8, v9
                                        ; implicit-def: $vgpr12_vgpr13
	s_mov_b32 s0, exec_lo
	v_cmpx_gt_u32_e32 8, v14
	s_xor_b32 s4, exec_lo, s0
	s_cbranch_execz .LBB3_45
; %bb.40:                               ;   in Loop: Header=BB3_31 Depth=1
	v_mov_b64_e32 v[12:13], 0
	s_mov_b32 s5, exec_lo
	v_cmpx_ne_u32_e32 0, v14
	s_cbranch_execz .LBB3_44
; %bb.41:                               ;   in Loop: Header=BB3_31 Depth=1
	v_mov_b64_e32 v[12:13], 0
	s_mov_b64 s[0:1], 0
	s_mov_b32 s10, 0
	s_mov_b32 s11, 0
.LBB3_42:                               ;   Parent Loop BB3_31 Depth=1
                                        ; =>  This Inner Loop Header: Depth=2
	scratch_load_u8 v8, v9, s11
	v_mov_b32_e32 v17, s7
	s_wait_xcnt 0x0
	s_add_co_i32 s11, s11, 1
	s_delay_alu instid0(SALU_CYCLE_1) | instskip(SKIP_3) | instid1(VALU_DEP_1)
	v_cmp_eq_u32_e32 vcc_lo, s11, v14
	s_or_b32 s10, vcc_lo, s10
	s_wait_loadcnt 0x0
	v_and_b32_e32 v16, 0xffff, v8
	v_lshlrev_b64_e32 v[16:17], s0, v[16:17]
	s_add_nc_u64 s[0:1], s[0:1], 8
	s_delay_alu instid0(VALU_DEP_1) | instskip(NEXT) | instid1(VALU_DEP_2)
	v_or_b32_e32 v13, v17, v13
	v_or_b32_e32 v12, v16, v12
	s_and_not1_b32 exec_lo, exec_lo, s10
	s_cbranch_execnz .LBB3_42
; %bb.43:                               ;   in Loop: Header=BB3_31 Depth=1
	s_or_b32 exec_lo, exec_lo, s10
.LBB3_44:                               ;   in Loop: Header=BB3_31 Depth=1
	s_delay_alu instid0(SALU_CYCLE_1)
	s_or_b32 exec_lo, exec_lo, s5
	v_mov_b32_e32 v8, v9
                                        ; implicit-def: $vgpr14
.LBB3_45:                               ;   in Loop: Header=BB3_31 Depth=1
	s_or_saveexec_b32 s0, s4
	v_mov_b32_e32 v16, 0
	s_xor_b32 exec_lo, exec_lo, s0
	s_cbranch_execz .LBB3_47
; %bb.46:                               ;   in Loop: Header=BB3_31 Depth=1
	scratch_load_b64 v[12:13], v9, off
	v_add_nc_u32_e32 v16, -8, v14
.LBB3_47:                               ;   in Loop: Header=BB3_31 Depth=1
	s_wait_xcnt 0x0
	s_or_b32 exec_lo, exec_lo, s0
	v_add_nc_u32_e32 v9, 8, v8
	s_mov_b32 s0, exec_lo
	v_cmpx_gt_u32_e32 8, v16
	s_xor_b32 s4, exec_lo, s0
	s_cbranch_execz .LBB3_53
; %bb.48:                               ;   in Loop: Header=BB3_31 Depth=1
	v_mov_b64_e32 v[14:15], 0
	s_mov_b32 s5, exec_lo
	v_cmpx_ne_u32_e32 0, v16
	s_cbranch_execz .LBB3_52
; %bb.49:                               ;   in Loop: Header=BB3_31 Depth=1
	v_mov_b64_e32 v[14:15], 0
	s_mov_b64 s[0:1], 0
	s_mov_b32 s10, 0
	s_mov_b32 s11, 0
.LBB3_50:                               ;   Parent Loop BB3_31 Depth=1
                                        ; =>  This Inner Loop Header: Depth=2
	scratch_load_u8 v9, v8, s11
	v_mov_b32_e32 v19, s7
	s_wait_xcnt 0x0
	s_add_co_i32 s11, s11, 1
	s_delay_alu instid0(SALU_CYCLE_1) | instskip(SKIP_3) | instid1(VALU_DEP_1)
	v_cmp_eq_u32_e32 vcc_lo, s11, v16
	s_or_b32 s10, vcc_lo, s10
	s_wait_loadcnt 0x0
	v_and_b32_e32 v18, 0xffff, v9
	v_lshlrev_b64_e32 v[18:19], s0, v[18:19]
	s_add_nc_u64 s[0:1], s[0:1], 8
	s_delay_alu instid0(VALU_DEP_1) | instskip(NEXT) | instid1(VALU_DEP_2)
	v_or_b32_e32 v15, v19, v15
	v_or_b32_e32 v14, v18, v14
	s_and_not1_b32 exec_lo, exec_lo, s10
	s_cbranch_execnz .LBB3_50
; %bb.51:                               ;   in Loop: Header=BB3_31 Depth=1
	s_or_b32 exec_lo, exec_lo, s10
.LBB3_52:                               ;   in Loop: Header=BB3_31 Depth=1
	s_delay_alu instid0(SALU_CYCLE_1)
	s_or_b32 exec_lo, exec_lo, s5
	v_mov_b32_e32 v9, v8
                                        ; implicit-def: $vgpr16
.LBB3_53:                               ;   in Loop: Header=BB3_31 Depth=1
	s_or_saveexec_b32 s0, s4
	v_mov_b32_e32 v18, 0
	s_xor_b32 exec_lo, exec_lo, s0
	s_cbranch_execz .LBB3_55
; %bb.54:                               ;   in Loop: Header=BB3_31 Depth=1
	scratch_load_b64 v[14:15], v8, off
	v_add_nc_u32_e32 v18, -8, v16
.LBB3_55:                               ;   in Loop: Header=BB3_31 Depth=1
	s_wait_xcnt 0x0
	s_or_b32 exec_lo, exec_lo, s0
	v_add_nc_u32_e32 v8, 8, v9
                                        ; implicit-def: $vgpr16_vgpr17
	s_mov_b32 s0, exec_lo
	v_cmpx_gt_u32_e32 8, v18
	s_xor_b32 s4, exec_lo, s0
	s_cbranch_execz .LBB3_61
; %bb.56:                               ;   in Loop: Header=BB3_31 Depth=1
	v_mov_b64_e32 v[16:17], 0
	s_mov_b32 s5, exec_lo
	v_cmpx_ne_u32_e32 0, v18
	s_cbranch_execz .LBB3_60
; %bb.57:                               ;   in Loop: Header=BB3_31 Depth=1
	v_mov_b64_e32 v[16:17], 0
	s_mov_b64 s[0:1], 0
	s_mov_b32 s10, 0
	s_mov_b32 s11, 0
.LBB3_58:                               ;   Parent Loop BB3_31 Depth=1
                                        ; =>  This Inner Loop Header: Depth=2
	scratch_load_u8 v8, v9, s11
	v_mov_b32_e32 v21, s7
	s_wait_xcnt 0x0
	s_add_co_i32 s11, s11, 1
	s_delay_alu instid0(SALU_CYCLE_1) | instskip(SKIP_3) | instid1(VALU_DEP_1)
	v_cmp_eq_u32_e32 vcc_lo, s11, v18
	s_or_b32 s10, vcc_lo, s10
	s_wait_loadcnt 0x0
	v_and_b32_e32 v20, 0xffff, v8
	v_lshlrev_b64_e32 v[20:21], s0, v[20:21]
	s_add_nc_u64 s[0:1], s[0:1], 8
	s_delay_alu instid0(VALU_DEP_1) | instskip(NEXT) | instid1(VALU_DEP_2)
	v_or_b32_e32 v17, v21, v17
	v_or_b32_e32 v16, v20, v16
	s_and_not1_b32 exec_lo, exec_lo, s10
	s_cbranch_execnz .LBB3_58
; %bb.59:                               ;   in Loop: Header=BB3_31 Depth=1
	s_or_b32 exec_lo, exec_lo, s10
.LBB3_60:                               ;   in Loop: Header=BB3_31 Depth=1
	s_delay_alu instid0(SALU_CYCLE_1)
	s_or_b32 exec_lo, exec_lo, s5
	v_mov_b32_e32 v8, v9
                                        ; implicit-def: $vgpr18
.LBB3_61:                               ;   in Loop: Header=BB3_31 Depth=1
	s_or_saveexec_b32 s0, s4
	v_mov_b32_e32 v20, 0
	s_xor_b32 exec_lo, exec_lo, s0
	s_cbranch_execz .LBB3_63
; %bb.62:                               ;   in Loop: Header=BB3_31 Depth=1
	scratch_load_b64 v[16:17], v9, off
	v_add_nc_u32_e32 v20, -8, v18
.LBB3_63:                               ;   in Loop: Header=BB3_31 Depth=1
	s_wait_xcnt 0x0
	s_or_b32 exec_lo, exec_lo, s0
	v_add_nc_u32_e32 v9, 8, v8
	s_mov_b32 s0, exec_lo
	v_cmpx_gt_u32_e32 8, v20
	s_xor_b32 s4, exec_lo, s0
	s_cbranch_execz .LBB3_69
; %bb.64:                               ;   in Loop: Header=BB3_31 Depth=1
	v_mov_b64_e32 v[18:19], 0
	s_mov_b32 s5, exec_lo
	v_cmpx_ne_u32_e32 0, v20
	s_cbranch_execz .LBB3_68
; %bb.65:                               ;   in Loop: Header=BB3_31 Depth=1
	v_mov_b64_e32 v[18:19], 0
	s_mov_b64 s[0:1], 0
	s_mov_b32 s10, 0
	s_mov_b32 s11, 0
.LBB3_66:                               ;   Parent Loop BB3_31 Depth=1
                                        ; =>  This Inner Loop Header: Depth=2
	scratch_load_u8 v9, v8, s11
	v_mov_b32_e32 v23, s7
	s_wait_xcnt 0x0
	s_add_co_i32 s11, s11, 1
	s_delay_alu instid0(SALU_CYCLE_1) | instskip(SKIP_3) | instid1(VALU_DEP_1)
	v_cmp_eq_u32_e32 vcc_lo, s11, v20
	s_or_b32 s10, vcc_lo, s10
	s_wait_loadcnt 0x0
	v_and_b32_e32 v22, 0xffff, v9
	v_lshlrev_b64_e32 v[22:23], s0, v[22:23]
	s_add_nc_u64 s[0:1], s[0:1], 8
	s_delay_alu instid0(VALU_DEP_1) | instskip(NEXT) | instid1(VALU_DEP_2)
	v_or_b32_e32 v19, v23, v19
	v_or_b32_e32 v18, v22, v18
	s_and_not1_b32 exec_lo, exec_lo, s10
	s_cbranch_execnz .LBB3_66
; %bb.67:                               ;   in Loop: Header=BB3_31 Depth=1
	s_or_b32 exec_lo, exec_lo, s10
.LBB3_68:                               ;   in Loop: Header=BB3_31 Depth=1
	s_delay_alu instid0(SALU_CYCLE_1)
	s_or_b32 exec_lo, exec_lo, s5
	v_mov_b32_e32 v9, v8
                                        ; implicit-def: $vgpr20
.LBB3_69:                               ;   in Loop: Header=BB3_31 Depth=1
	s_or_saveexec_b32 s0, s4
	v_mov_b32_e32 v22, 0
	s_xor_b32 exec_lo, exec_lo, s0
	s_cbranch_execz .LBB3_71
; %bb.70:                               ;   in Loop: Header=BB3_31 Depth=1
	scratch_load_b64 v[18:19], v8, off
	v_add_nc_u32_e32 v22, -8, v20
.LBB3_71:                               ;   in Loop: Header=BB3_31 Depth=1
	s_wait_xcnt 0x0
	s_or_b32 exec_lo, exec_lo, s0
	v_add_nc_u32_e32 v8, 8, v9
                                        ; implicit-def: $vgpr20_vgpr21
	s_mov_b32 s0, exec_lo
	v_cmpx_gt_u32_e32 8, v22
	s_xor_b32 s4, exec_lo, s0
	s_cbranch_execz .LBB3_77
; %bb.72:                               ;   in Loop: Header=BB3_31 Depth=1
	v_mov_b64_e32 v[20:21], 0
	s_mov_b32 s5, exec_lo
	v_cmpx_ne_u32_e32 0, v22
	s_cbranch_execz .LBB3_76
; %bb.73:                               ;   in Loop: Header=BB3_31 Depth=1
	v_mov_b64_e32 v[20:21], 0
	s_mov_b64 s[0:1], 0
	s_mov_b32 s10, 0
	s_mov_b32 s11, 0
.LBB3_74:                               ;   Parent Loop BB3_31 Depth=1
                                        ; =>  This Inner Loop Header: Depth=2
	scratch_load_u8 v8, v9, s11
	v_mov_b32_e32 v25, s7
	s_wait_xcnt 0x0
	s_add_co_i32 s11, s11, 1
	s_delay_alu instid0(SALU_CYCLE_1) | instskip(SKIP_3) | instid1(VALU_DEP_1)
	v_cmp_eq_u32_e32 vcc_lo, s11, v22
	s_or_b32 s10, vcc_lo, s10
	s_wait_loadcnt 0x0
	v_and_b32_e32 v24, 0xffff, v8
	v_lshlrev_b64_e32 v[24:25], s0, v[24:25]
	s_add_nc_u64 s[0:1], s[0:1], 8
	s_delay_alu instid0(VALU_DEP_1) | instskip(NEXT) | instid1(VALU_DEP_2)
	v_or_b32_e32 v21, v25, v21
	v_or_b32_e32 v20, v24, v20
	s_and_not1_b32 exec_lo, exec_lo, s10
	s_cbranch_execnz .LBB3_74
; %bb.75:                               ;   in Loop: Header=BB3_31 Depth=1
	s_or_b32 exec_lo, exec_lo, s10
.LBB3_76:                               ;   in Loop: Header=BB3_31 Depth=1
	s_delay_alu instid0(SALU_CYCLE_1)
	s_or_b32 exec_lo, exec_lo, s5
	v_mov_b32_e32 v8, v9
                                        ; implicit-def: $vgpr22
.LBB3_77:                               ;   in Loop: Header=BB3_31 Depth=1
	s_or_saveexec_b32 s0, s4
	v_mov_b32_e32 v24, 0
	s_xor_b32 exec_lo, exec_lo, s0
	s_cbranch_execz .LBB3_79
; %bb.78:                               ;   in Loop: Header=BB3_31 Depth=1
	scratch_load_b64 v[20:21], v9, off
	v_add_nc_u32_e32 v24, -8, v22
.LBB3_79:                               ;   in Loop: Header=BB3_31 Depth=1
	s_wait_xcnt 0x0
	s_or_b32 exec_lo, exec_lo, s0
	s_delay_alu instid0(SALU_CYCLE_1) | instskip(NEXT) | instid1(VALU_DEP_1)
	s_mov_b32 s0, exec_lo
	v_cmpx_gt_u32_e32 8, v24
	s_xor_b32 s4, exec_lo, s0
	s_cbranch_execz .LBB3_85
; %bb.80:                               ;   in Loop: Header=BB3_31 Depth=1
	v_mov_b64_e32 v[22:23], 0
	s_mov_b32 s5, exec_lo
	v_cmpx_ne_u32_e32 0, v24
	s_cbranch_execz .LBB3_84
; %bb.81:                               ;   in Loop: Header=BB3_31 Depth=1
	v_mov_b64_e32 v[22:23], 0
	s_mov_b64 s[0:1], 0
	s_mov_b32 s10, 0
.LBB3_82:                               ;   Parent Loop BB3_31 Depth=1
                                        ; =>  This Inner Loop Header: Depth=2
	scratch_load_u8 v9, v8, off
	v_dual_mov_b32 v27, s7 :: v_dual_add_nc_u32 v24, -1, v24
	s_delay_alu instid0(VALU_DEP_1) | instskip(SKIP_3) | instid1(VALU_DEP_1)
	v_cmp_eq_u32_e32 vcc_lo, 0, v24
	s_or_b32 s10, vcc_lo, s10
	s_wait_loadcnt 0x0
	v_and_b32_e32 v26, 0xffff, v9
	v_lshlrev_b64_e32 v[26:27], s0, v[26:27]
	s_wait_xcnt 0x0
	v_add_nc_u32_e32 v8, 1, v8
	s_add_nc_u64 s[0:1], s[0:1], 8
	s_delay_alu instid0(VALU_DEP_2) | instskip(NEXT) | instid1(VALU_DEP_3)
	v_or_b32_e32 v23, v27, v23
	v_or_b32_e32 v22, v26, v22
	s_and_not1_b32 exec_lo, exec_lo, s10
	s_cbranch_execnz .LBB3_82
; %bb.83:                               ;   in Loop: Header=BB3_31 Depth=1
	s_or_b32 exec_lo, exec_lo, s10
.LBB3_84:                               ;   in Loop: Header=BB3_31 Depth=1
	s_delay_alu instid0(SALU_CYCLE_1)
	s_or_b32 exec_lo, exec_lo, s5
                                        ; implicit-def: $vgpr8
.LBB3_85:                               ;   in Loop: Header=BB3_31 Depth=1
	s_and_not1_saveexec_b32 s0, s4
	s_cbranch_execz .LBB3_87
; %bb.86:                               ;   in Loop: Header=BB3_31 Depth=1
	scratch_load_b64 v[22:23], v8, off
.LBB3_87:                               ;   in Loop: Header=BB3_31 Depth=1
	s_wait_xcnt 0x0
	s_or_b32 exec_lo, exec_lo, s0
	v_readfirstlane_b32 s0, v48
	v_mov_b64_e32 v[8:9], 0
	s_delay_alu instid0(VALU_DEP_2)
	v_cmp_eq_u32_e64 s0, s0, v48
	s_and_saveexec_b32 s1, s0
	s_cbranch_execz .LBB3_93
; %bb.88:                               ;   in Loop: Header=BB3_31 Depth=1
	global_load_b64 v[26:27], v31, s[2:3] offset:24 scope:SCOPE_SYS
	s_wait_loadcnt 0x0
	global_inv scope:SCOPE_SYS
	s_clause 0x1
	global_load_b64 v[8:9], v31, s[2:3] offset:40
	global_load_b64 v[24:25], v31, s[2:3]
	s_mov_b32 s4, exec_lo
	s_wait_loadcnt 0x1
	v_and_b32_e32 v8, v8, v26
	v_and_b32_e32 v9, v9, v27
	s_delay_alu instid0(VALU_DEP_1) | instskip(SKIP_1) | instid1(VALU_DEP_1)
	v_mul_u64_e32 v[8:9], 24, v[8:9]
	s_wait_loadcnt 0x0
	v_add_nc_u64_e32 v[8:9], v[24:25], v[8:9]
	global_load_b64 v[24:25], v[8:9], off scope:SCOPE_SYS
	s_wait_xcnt 0x0
	s_wait_loadcnt 0x0
	global_atomic_cmpswap_b64 v[8:9], v31, v[24:27], s[2:3] offset:24 th:TH_ATOMIC_RETURN scope:SCOPE_SYS
	s_wait_loadcnt 0x0
	global_inv scope:SCOPE_SYS
	s_wait_xcnt 0x0
	v_cmpx_ne_u64_e64 v[8:9], v[26:27]
	s_cbranch_execz .LBB3_92
; %bb.89:                               ;   in Loop: Header=BB3_31 Depth=1
	s_mov_b32 s5, 0
.LBB3_90:                               ;   Parent Loop BB3_31 Depth=1
                                        ; =>  This Inner Loop Header: Depth=2
	s_sleep 1
	s_clause 0x1
	global_load_b64 v[24:25], v31, s[2:3] offset:40
	global_load_b64 v[36:37], v31, s[2:3]
	v_mov_b64_e32 v[26:27], v[8:9]
	s_wait_loadcnt 0x1
	s_delay_alu instid0(VALU_DEP_1) | instskip(NEXT) | instid1(VALU_DEP_2)
	v_and_b32_e32 v8, v24, v26
	v_and_b32_e32 v24, v25, v27
	s_wait_loadcnt 0x0
	s_delay_alu instid0(VALU_DEP_2) | instskip(NEXT) | instid1(VALU_DEP_1)
	v_mad_nc_u64_u32 v[8:9], v8, 24, v[36:37]
	v_mad_u32 v9, v24, 24, v9
	global_load_b64 v[24:25], v[8:9], off scope:SCOPE_SYS
	s_wait_xcnt 0x0
	s_wait_loadcnt 0x0
	global_atomic_cmpswap_b64 v[8:9], v31, v[24:27], s[2:3] offset:24 th:TH_ATOMIC_RETURN scope:SCOPE_SYS
	s_wait_loadcnt 0x0
	global_inv scope:SCOPE_SYS
	v_cmp_eq_u64_e32 vcc_lo, v[8:9], v[26:27]
	s_or_b32 s5, vcc_lo, s5
	s_wait_xcnt 0x0
	s_and_not1_b32 exec_lo, exec_lo, s5
	s_cbranch_execnz .LBB3_90
; %bb.91:                               ;   in Loop: Header=BB3_31 Depth=1
	s_or_b32 exec_lo, exec_lo, s5
.LBB3_92:                               ;   in Loop: Header=BB3_31 Depth=1
	s_delay_alu instid0(SALU_CYCLE_1)
	s_or_b32 exec_lo, exec_lo, s4
.LBB3_93:                               ;   in Loop: Header=BB3_31 Depth=1
	s_delay_alu instid0(SALU_CYCLE_1)
	s_or_b32 exec_lo, exec_lo, s1
	s_clause 0x1
	global_load_b64 v[36:37], v31, s[2:3] offset:40
	global_load_b128 v[24:27], v31, s[2:3]
	v_readfirstlane_b32 s4, v8
	v_readfirstlane_b32 s5, v9
	s_mov_b32 s1, exec_lo
	s_wait_loadcnt 0x1
	v_and_b32_e32 v38, s4, v36
	v_and_b32_e32 v39, s5, v37
	s_delay_alu instid0(VALU_DEP_1) | instskip(SKIP_1) | instid1(VALU_DEP_1)
	v_mul_u64_e32 v[8:9], 24, v[38:39]
	s_wait_loadcnt 0x0
	v_add_nc_u64_e32 v[36:37], v[24:25], v[8:9]
	s_wait_xcnt 0x0
	s_and_saveexec_b32 s10, s0
	s_cbranch_execz .LBB3_95
; %bb.94:                               ;   in Loop: Header=BB3_31 Depth=1
	v_dual_mov_b32 v8, s1 :: v_dual_mov_b32 v9, v31
	global_store_b128 v[36:37], v[8:11], off offset:8
.LBB3_95:                               ;   in Loop: Header=BB3_31 Depth=1
	s_wait_xcnt 0x0
	s_or_b32 exec_lo, exec_lo, s10
	v_cmp_gt_u64_e32 vcc_lo, 57, v[32:33]
	v_lshlrev_b64_e32 v[8:9], 12, v[38:39]
	v_and_b32_e32 v0, 0xffffff1f, v0
	v_lshl_add_u32 v39, v34, 2, 28
	v_cndmask_b32_e32 v38, 0, v28, vcc_lo
	s_delay_alu instid0(VALU_DEP_4) | instskip(NEXT) | instid1(VALU_DEP_2)
	v_add_nc_u64_e32 v[8:9], v[26:27], v[8:9]
	v_or_b32_e32 v0, v0, v38
	s_delay_alu instid0(VALU_DEP_2) | instskip(NEXT) | instid1(VALU_DEP_3)
	v_readfirstlane_b32 s10, v8
	v_readfirstlane_b32 s11, v9
	s_delay_alu instid0(VALU_DEP_3)
	v_and_or_b32 v0, 0x1e0, v39, v0
	s_clause 0x3
	global_store_b128 v30, v[0:3], s[10:11]
	global_store_b128 v30, v[12:15], s[10:11] offset:16
	global_store_b128 v30, v[16:19], s[10:11] offset:32
	;; [unrolled: 1-line block ×3, first 2 shown]
	s_wait_xcnt 0x0
	s_and_saveexec_b32 s1, s0
	s_cbranch_execz .LBB3_103
; %bb.96:                               ;   in Loop: Header=BB3_31 Depth=1
	s_clause 0x1
	global_load_b64 v[16:17], v31, s[2:3] offset:32 scope:SCOPE_SYS
	global_load_b64 v[0:1], v31, s[2:3] offset:40
	s_mov_b32 s10, exec_lo
	v_dual_mov_b32 v14, s4 :: v_dual_mov_b32 v15, s5
	s_wait_loadcnt 0x0
	v_and_b32_e32 v1, s5, v1
	v_and_b32_e32 v0, s4, v0
	s_delay_alu instid0(VALU_DEP_1) | instskip(NEXT) | instid1(VALU_DEP_1)
	v_mul_u64_e32 v[0:1], 24, v[0:1]
	v_add_nc_u64_e32 v[12:13], v[24:25], v[0:1]
	global_store_b64 v[12:13], v[16:17], off
	global_wb scope:SCOPE_SYS
	s_wait_storecnt 0x0
	s_wait_xcnt 0x0
	global_atomic_cmpswap_b64 v[2:3], v31, v[14:17], s[2:3] offset:32 th:TH_ATOMIC_RETURN scope:SCOPE_SYS
	s_wait_loadcnt 0x0
	v_cmpx_ne_u64_e64 v[2:3], v[16:17]
	s_cbranch_execz .LBB3_99
; %bb.97:                               ;   in Loop: Header=BB3_31 Depth=1
	s_mov_b32 s11, 0
.LBB3_98:                               ;   Parent Loop BB3_31 Depth=1
                                        ; =>  This Inner Loop Header: Depth=2
	v_dual_mov_b32 v0, s4 :: v_dual_mov_b32 v1, s5
	s_sleep 1
	global_store_b64 v[12:13], v[2:3], off
	global_wb scope:SCOPE_SYS
	s_wait_storecnt 0x0
	s_wait_xcnt 0x0
	global_atomic_cmpswap_b64 v[0:1], v31, v[0:3], s[2:3] offset:32 th:TH_ATOMIC_RETURN scope:SCOPE_SYS
	s_wait_loadcnt 0x0
	v_cmp_eq_u64_e32 vcc_lo, v[0:1], v[2:3]
	v_mov_b64_e32 v[2:3], v[0:1]
	s_or_b32 s11, vcc_lo, s11
	s_delay_alu instid0(SALU_CYCLE_1)
	s_and_not1_b32 exec_lo, exec_lo, s11
	s_cbranch_execnz .LBB3_98
.LBB3_99:                               ;   in Loop: Header=BB3_31 Depth=1
	s_or_b32 exec_lo, exec_lo, s10
	global_load_b64 v[0:1], v31, s[2:3] offset:16
	s_mov_b32 s11, exec_lo
	s_mov_b32 s10, exec_lo
	v_mbcnt_lo_u32_b32 v2, s11, 0
	s_wait_xcnt 0x0
	s_delay_alu instid0(VALU_DEP_1)
	v_cmpx_eq_u32_e32 0, v2
	s_cbranch_execz .LBB3_101
; %bb.100:                              ;   in Loop: Header=BB3_31 Depth=1
	s_bcnt1_i32_b32 s11, s11
	s_delay_alu instid0(SALU_CYCLE_1)
	v_dual_mov_b32 v3, v31 :: v_dual_mov_b32 v2, s11
	global_wb scope:SCOPE_SYS
	s_wait_loadcnt 0x0
	s_wait_storecnt 0x0
	global_atomic_add_u64 v[0:1], v[2:3], off offset:8 scope:SCOPE_SYS
.LBB3_101:                              ;   in Loop: Header=BB3_31 Depth=1
	s_wait_xcnt 0x0
	s_or_b32 exec_lo, exec_lo, s10
	s_wait_loadcnt 0x0
	global_load_b64 v[2:3], v[0:1], off offset:16
	s_wait_loadcnt 0x0
	v_cmp_eq_u64_e32 vcc_lo, 0, v[2:3]
	s_cbranch_vccnz .LBB3_103
; %bb.102:                              ;   in Loop: Header=BB3_31 Depth=1
	global_load_b32 v0, v[0:1], off offset:24
	s_wait_xcnt 0x0
	v_mov_b32_e32 v1, v31
	s_wait_loadcnt 0x0
	v_readfirstlane_b32 s10, v0
	global_wb scope:SCOPE_SYS
	s_wait_storecnt 0x0
	global_store_b64 v[2:3], v[0:1], off scope:SCOPE_SYS
	s_and_b32 m0, s10, 0xffffff
	s_sendmsg sendmsg(MSG_INTERRUPT)
.LBB3_103:                              ;   in Loop: Header=BB3_31 Depth=1
	s_wait_xcnt 0x0
	s_or_b32 exec_lo, exec_lo, s1
	v_add_nc_u64_e32 v[0:1], v[8:9], v[30:31]
	s_branch .LBB3_107
.LBB3_104:                              ;   in Loop: Header=BB3_107 Depth=2
	s_wait_xcnt 0x0
	s_or_b32 exec_lo, exec_lo, s1
	s_delay_alu instid0(VALU_DEP_1)
	v_readfirstlane_b32 s1, v2
	s_cmp_eq_u32 s1, 0
	s_cbranch_scc1 .LBB3_106
; %bb.105:                              ;   in Loop: Header=BB3_107 Depth=2
	s_sleep 1
	s_cbranch_execnz .LBB3_107
	s_branch .LBB3_109
.LBB3_106:                              ;   in Loop: Header=BB3_31 Depth=1
	s_branch .LBB3_109
.LBB3_107:                              ;   Parent Loop BB3_31 Depth=1
                                        ; =>  This Inner Loop Header: Depth=2
	v_mov_b32_e32 v2, 1
	s_and_saveexec_b32 s1, s0
	s_cbranch_execz .LBB3_104
; %bb.108:                              ;   in Loop: Header=BB3_107 Depth=2
	global_load_b32 v2, v[36:37], off offset:20 scope:SCOPE_SYS
	s_wait_loadcnt 0x0
	global_inv scope:SCOPE_SYS
	v_and_b32_e32 v2, 1, v2
	s_branch .LBB3_104
.LBB3_109:                              ;   in Loop: Header=BB3_31 Depth=1
	global_load_b64 v[0:1], v[0:1], off
	s_wait_xcnt 0x0
	s_and_saveexec_b32 s10, s0
	s_cbranch_execz .LBB3_30
; %bb.110:                              ;   in Loop: Header=BB3_31 Depth=1
	s_clause 0x2
	global_load_b64 v[2:3], v31, s[2:3] offset:40
	global_load_b64 v[16:17], v31, s[2:3] offset:24 scope:SCOPE_SYS
	global_load_b64 v[8:9], v31, s[2:3]
	s_wait_loadcnt 0x2
	v_readfirstlane_b32 s12, v2
	v_readfirstlane_b32 s13, v3
	s_add_nc_u64 s[0:1], s[12:13], 1
	s_delay_alu instid0(SALU_CYCLE_1) | instskip(NEXT) | instid1(SALU_CYCLE_1)
	s_add_nc_u64 s[4:5], s[0:1], s[4:5]
	s_cmp_eq_u64 s[4:5], 0
	s_cselect_b32 s1, s1, s5
	s_cselect_b32 s0, s0, s4
	s_delay_alu instid0(SALU_CYCLE_1) | instskip(SKIP_1) | instid1(SALU_CYCLE_1)
	v_dual_mov_b32 v15, s1 :: v_dual_mov_b32 v14, s0
	s_and_b64 s[4:5], s[0:1], s[12:13]
	s_mul_u64 s[4:5], s[4:5], 24
	s_wait_loadcnt 0x0
	v_add_nc_u64_e32 v[2:3], s[4:5], v[8:9]
	global_store_b64 v[2:3], v[16:17], off
	global_wb scope:SCOPE_SYS
	s_wait_storecnt 0x0
	s_wait_xcnt 0x0
	global_atomic_cmpswap_b64 v[14:15], v31, v[14:17], s[2:3] offset:24 th:TH_ATOMIC_RETURN scope:SCOPE_SYS
	s_wait_loadcnt 0x0
	v_cmp_ne_u64_e32 vcc_lo, v[14:15], v[16:17]
	s_and_b32 exec_lo, exec_lo, vcc_lo
	s_cbranch_execz .LBB3_30
; %bb.111:                              ;   in Loop: Header=BB3_31 Depth=1
	s_mov_b32 s4, 0
.LBB3_112:                              ;   Parent Loop BB3_31 Depth=1
                                        ; =>  This Inner Loop Header: Depth=2
	v_dual_mov_b32 v12, s0 :: v_dual_mov_b32 v13, s1
	s_sleep 1
	global_store_b64 v[2:3], v[14:15], off
	global_wb scope:SCOPE_SYS
	s_wait_storecnt 0x0
	s_wait_xcnt 0x0
	global_atomic_cmpswap_b64 v[8:9], v31, v[12:15], s[2:3] offset:24 th:TH_ATOMIC_RETURN scope:SCOPE_SYS
	s_wait_loadcnt 0x0
	v_cmp_eq_u64_e32 vcc_lo, v[8:9], v[14:15]
	v_mov_b64_e32 v[14:15], v[8:9]
	s_or_b32 s4, vcc_lo, s4
	s_delay_alu instid0(SALU_CYCLE_1)
	s_and_not1_b32 exec_lo, exec_lo, s4
	s_cbranch_execnz .LBB3_112
	s_branch .LBB3_30
.LBB3_113:
                                        ; implicit-def: $vgpr0_vgpr1
	s_cbranch_execnz .LBB3_193
.LBB3_114:
	s_get_pc_i64 s[4:5]
	s_add_nc_u64 s[4:5], s[4:5], .str.5@rel64+4
	s_delay_alu instid0(SALU_CYCLE_1)
	s_cmp_lg_u64 s[4:5], 0
	s_cbranch_scc0 .LBB3_221
.LBB3_115:
	v_mov_b64_e32 v[12:13], 0x100000002
	s_get_pc_i64 s[0:1]
	s_add_nc_u64 s[0:1], s[0:1], .str.5@rel64+80
	s_wait_loadcnt 0x0
	v_dual_mov_b32 v11, 0 :: v_dual_bitop2_b32 v2, 2, v0 bitop3:0x40
	v_dual_mov_b32 v7, v1 :: v_dual_bitop2_b32 v6, -3, v0 bitop3:0x40
	s_sub_co_i32 s6, s0, s4
	s_delay_alu instid0(SALU_CYCLE_1)
	s_ashr_i32 s7, s6, 31
	s_branch .LBB3_117
.LBB3_116:                              ;   in Loop: Header=BB3_117 Depth=1
	s_or_b32 exec_lo, exec_lo, s14
	s_sub_nc_u64 s[6:7], s[6:7], s[10:11]
	s_add_nc_u64 s[4:5], s[4:5], s[10:11]
	s_cmp_lg_u64 s[6:7], 0
	s_cbranch_scc0 .LBB3_215
.LBB3_117:                              ; =>This Loop Header: Depth=1
                                        ;     Child Loop BB3_120 Depth 2
                                        ;     Child Loop BB3_127 Depth 2
	;; [unrolled: 1-line block ×11, first 2 shown]
	v_min_u64 v[8:9], s[6:7], 56
	v_cmp_gt_u64_e64 s0, s[6:7], 7
	s_and_b32 vcc_lo, exec_lo, s0
	v_readfirstlane_b32 s10, v8
	v_readfirstlane_b32 s11, v9
	s_cbranch_vccnz .LBB3_122
; %bb.118:                              ;   in Loop: Header=BB3_117 Depth=1
	v_mov_b64_e32 v[8:9], 0
	s_cmp_eq_u64 s[6:7], 0
	s_cbranch_scc1 .LBB3_121
; %bb.119:                              ;   in Loop: Header=BB3_117 Depth=1
	s_mov_b64 s[0:1], 0
	s_mov_b64 s[12:13], 0
.LBB3_120:                              ;   Parent Loop BB3_117 Depth=1
                                        ; =>  This Inner Loop Header: Depth=2
	s_wait_xcnt 0x0
	s_add_nc_u64 s[14:15], s[4:5], s[12:13]
	s_add_nc_u64 s[12:13], s[12:13], 1
	global_load_u8 v3, v11, s[14:15]
	s_cmp_lg_u32 s10, s12
	s_wait_loadcnt 0x0
	v_and_b32_e32 v10, 0xffff, v3
	s_delay_alu instid0(VALU_DEP_1) | instskip(SKIP_1) | instid1(VALU_DEP_1)
	v_lshlrev_b64_e32 v[14:15], s0, v[10:11]
	s_add_nc_u64 s[0:1], s[0:1], 8
	v_or_b32_e32 v8, v14, v8
	s_delay_alu instid0(VALU_DEP_2)
	v_or_b32_e32 v9, v15, v9
	s_cbranch_scc1 .LBB3_120
.LBB3_121:                              ;   in Loop: Header=BB3_117 Depth=1
	s_mov_b64 s[12:13], s[4:5]
	s_mov_b32 s16, 0
	s_cbranch_execz .LBB3_123
	s_branch .LBB3_124
.LBB3_122:                              ;   in Loop: Header=BB3_117 Depth=1
	s_add_nc_u64 s[12:13], s[4:5], 8
	s_mov_b32 s16, 0
.LBB3_123:                              ;   in Loop: Header=BB3_117 Depth=1
	global_load_b64 v[8:9], v11, s[4:5]
	s_add_co_i32 s16, s10, -8
.LBB3_124:                              ;   in Loop: Header=BB3_117 Depth=1
	s_delay_alu instid0(SALU_CYCLE_1)
	s_cmp_gt_u32 s16, 7
	s_cbranch_scc1 .LBB3_129
; %bb.125:                              ;   in Loop: Header=BB3_117 Depth=1
	v_mov_b64_e32 v[14:15], 0
	s_cmp_eq_u32 s16, 0
	s_cbranch_scc1 .LBB3_128
; %bb.126:                              ;   in Loop: Header=BB3_117 Depth=1
	s_mov_b64 s[0:1], 0
	s_wait_xcnt 0x0
	s_mov_b64 s[14:15], 0
.LBB3_127:                              ;   Parent Loop BB3_117 Depth=1
                                        ; =>  This Inner Loop Header: Depth=2
	s_wait_xcnt 0x0
	s_add_nc_u64 s[18:19], s[12:13], s[14:15]
	s_add_nc_u64 s[14:15], s[14:15], 1
	global_load_u8 v3, v11, s[18:19]
	s_cmp_lg_u32 s16, s14
	s_wait_loadcnt 0x0
	v_and_b32_e32 v10, 0xffff, v3
	s_delay_alu instid0(VALU_DEP_1) | instskip(SKIP_1) | instid1(VALU_DEP_1)
	v_lshlrev_b64_e32 v[16:17], s0, v[10:11]
	s_add_nc_u64 s[0:1], s[0:1], 8
	v_or_b32_e32 v14, v16, v14
	s_delay_alu instid0(VALU_DEP_2)
	v_or_b32_e32 v15, v17, v15
	s_cbranch_scc1 .LBB3_127
.LBB3_128:                              ;   in Loop: Header=BB3_117 Depth=1
	s_wait_xcnt 0x0
	s_mov_b64 s[0:1], s[12:13]
	s_mov_b32 s17, 0
	s_cbranch_execz .LBB3_130
	s_branch .LBB3_131
.LBB3_129:                              ;   in Loop: Header=BB3_117 Depth=1
	s_add_nc_u64 s[0:1], s[12:13], 8
	s_wait_xcnt 0x0
                                        ; implicit-def: $vgpr14_vgpr15
	s_mov_b32 s17, 0
.LBB3_130:                              ;   in Loop: Header=BB3_117 Depth=1
	global_load_b64 v[14:15], v11, s[12:13]
	s_add_co_i32 s17, s16, -8
.LBB3_131:                              ;   in Loop: Header=BB3_117 Depth=1
	s_delay_alu instid0(SALU_CYCLE_1)
	s_cmp_gt_u32 s17, 7
	s_cbranch_scc1 .LBB3_136
; %bb.132:                              ;   in Loop: Header=BB3_117 Depth=1
	v_mov_b64_e32 v[16:17], 0
	s_cmp_eq_u32 s17, 0
	s_cbranch_scc1 .LBB3_135
; %bb.133:                              ;   in Loop: Header=BB3_117 Depth=1
	s_wait_xcnt 0x0
	s_mov_b64 s[12:13], 0
	s_mov_b64 s[14:15], 0
.LBB3_134:                              ;   Parent Loop BB3_117 Depth=1
                                        ; =>  This Inner Loop Header: Depth=2
	s_wait_xcnt 0x0
	s_add_nc_u64 s[18:19], s[0:1], s[14:15]
	s_add_nc_u64 s[14:15], s[14:15], 1
	global_load_u8 v3, v11, s[18:19]
	s_cmp_lg_u32 s17, s14
	s_wait_loadcnt 0x0
	v_and_b32_e32 v10, 0xffff, v3
	s_delay_alu instid0(VALU_DEP_1) | instskip(SKIP_1) | instid1(VALU_DEP_1)
	v_lshlrev_b64_e32 v[18:19], s12, v[10:11]
	s_add_nc_u64 s[12:13], s[12:13], 8
	v_or_b32_e32 v16, v18, v16
	s_delay_alu instid0(VALU_DEP_2)
	v_or_b32_e32 v17, v19, v17
	s_cbranch_scc1 .LBB3_134
.LBB3_135:                              ;   in Loop: Header=BB3_117 Depth=1
	s_wait_xcnt 0x0
	s_mov_b64 s[12:13], s[0:1]
	s_mov_b32 s16, 0
	s_cbranch_execz .LBB3_137
	s_branch .LBB3_138
.LBB3_136:                              ;   in Loop: Header=BB3_117 Depth=1
	s_wait_xcnt 0x0
	s_add_nc_u64 s[12:13], s[0:1], 8
	s_mov_b32 s16, 0
.LBB3_137:                              ;   in Loop: Header=BB3_117 Depth=1
	global_load_b64 v[16:17], v11, s[0:1]
	s_add_co_i32 s16, s17, -8
.LBB3_138:                              ;   in Loop: Header=BB3_117 Depth=1
	s_delay_alu instid0(SALU_CYCLE_1)
	s_cmp_gt_u32 s16, 7
	s_cbranch_scc1 .LBB3_143
; %bb.139:                              ;   in Loop: Header=BB3_117 Depth=1
	v_mov_b64_e32 v[18:19], 0
	s_cmp_eq_u32 s16, 0
	s_cbranch_scc1 .LBB3_142
; %bb.140:                              ;   in Loop: Header=BB3_117 Depth=1
	s_wait_xcnt 0x0
	s_mov_b64 s[0:1], 0
	s_mov_b64 s[14:15], 0
.LBB3_141:                              ;   Parent Loop BB3_117 Depth=1
                                        ; =>  This Inner Loop Header: Depth=2
	s_wait_xcnt 0x0
	s_add_nc_u64 s[18:19], s[12:13], s[14:15]
	s_add_nc_u64 s[14:15], s[14:15], 1
	global_load_u8 v3, v11, s[18:19]
	s_cmp_lg_u32 s16, s14
	s_wait_loadcnt 0x0
	v_and_b32_e32 v10, 0xffff, v3
	s_delay_alu instid0(VALU_DEP_1) | instskip(SKIP_1) | instid1(VALU_DEP_1)
	v_lshlrev_b64_e32 v[20:21], s0, v[10:11]
	s_add_nc_u64 s[0:1], s[0:1], 8
	v_or_b32_e32 v18, v20, v18
	s_delay_alu instid0(VALU_DEP_2)
	v_or_b32_e32 v19, v21, v19
	s_cbranch_scc1 .LBB3_141
.LBB3_142:                              ;   in Loop: Header=BB3_117 Depth=1
	s_wait_xcnt 0x0
	s_mov_b64 s[0:1], s[12:13]
	s_mov_b32 s17, 0
	s_cbranch_execz .LBB3_144
	s_branch .LBB3_145
.LBB3_143:                              ;   in Loop: Header=BB3_117 Depth=1
	s_wait_xcnt 0x0
	s_add_nc_u64 s[0:1], s[12:13], 8
                                        ; implicit-def: $vgpr18_vgpr19
	s_mov_b32 s17, 0
.LBB3_144:                              ;   in Loop: Header=BB3_117 Depth=1
	global_load_b64 v[18:19], v11, s[12:13]
	s_add_co_i32 s17, s16, -8
.LBB3_145:                              ;   in Loop: Header=BB3_117 Depth=1
	s_delay_alu instid0(SALU_CYCLE_1)
	s_cmp_gt_u32 s17, 7
	s_cbranch_scc1 .LBB3_150
; %bb.146:                              ;   in Loop: Header=BB3_117 Depth=1
	v_mov_b64_e32 v[20:21], 0
	s_cmp_eq_u32 s17, 0
	s_cbranch_scc1 .LBB3_149
; %bb.147:                              ;   in Loop: Header=BB3_117 Depth=1
	s_wait_xcnt 0x0
	s_mov_b64 s[12:13], 0
	s_mov_b64 s[14:15], 0
.LBB3_148:                              ;   Parent Loop BB3_117 Depth=1
                                        ; =>  This Inner Loop Header: Depth=2
	s_wait_xcnt 0x0
	s_add_nc_u64 s[18:19], s[0:1], s[14:15]
	s_add_nc_u64 s[14:15], s[14:15], 1
	global_load_u8 v3, v11, s[18:19]
	s_cmp_lg_u32 s17, s14
	s_wait_loadcnt 0x0
	v_and_b32_e32 v10, 0xffff, v3
	s_delay_alu instid0(VALU_DEP_1) | instskip(SKIP_1) | instid1(VALU_DEP_1)
	v_lshlrev_b64_e32 v[22:23], s12, v[10:11]
	s_add_nc_u64 s[12:13], s[12:13], 8
	v_or_b32_e32 v20, v22, v20
	s_delay_alu instid0(VALU_DEP_2)
	v_or_b32_e32 v21, v23, v21
	s_cbranch_scc1 .LBB3_148
.LBB3_149:                              ;   in Loop: Header=BB3_117 Depth=1
	s_wait_xcnt 0x0
	s_mov_b64 s[12:13], s[0:1]
	s_mov_b32 s16, 0
	s_cbranch_execz .LBB3_151
	s_branch .LBB3_152
.LBB3_150:                              ;   in Loop: Header=BB3_117 Depth=1
	s_wait_xcnt 0x0
	s_add_nc_u64 s[12:13], s[0:1], 8
	s_mov_b32 s16, 0
.LBB3_151:                              ;   in Loop: Header=BB3_117 Depth=1
	global_load_b64 v[20:21], v11, s[0:1]
	s_add_co_i32 s16, s17, -8
.LBB3_152:                              ;   in Loop: Header=BB3_117 Depth=1
	s_delay_alu instid0(SALU_CYCLE_1)
	s_cmp_gt_u32 s16, 7
	s_cbranch_scc1 .LBB3_157
; %bb.153:                              ;   in Loop: Header=BB3_117 Depth=1
	v_mov_b64_e32 v[22:23], 0
	s_cmp_eq_u32 s16, 0
	s_cbranch_scc1 .LBB3_156
; %bb.154:                              ;   in Loop: Header=BB3_117 Depth=1
	s_wait_xcnt 0x0
	s_mov_b64 s[0:1], 0
	s_mov_b64 s[14:15], 0
.LBB3_155:                              ;   Parent Loop BB3_117 Depth=1
                                        ; =>  This Inner Loop Header: Depth=2
	s_wait_xcnt 0x0
	s_add_nc_u64 s[18:19], s[12:13], s[14:15]
	s_add_nc_u64 s[14:15], s[14:15], 1
	global_load_u8 v3, v11, s[18:19]
	s_cmp_lg_u32 s16, s14
	s_wait_loadcnt 0x0
	v_and_b32_e32 v10, 0xffff, v3
	s_delay_alu instid0(VALU_DEP_1) | instskip(SKIP_1) | instid1(VALU_DEP_1)
	v_lshlrev_b64_e32 v[24:25], s0, v[10:11]
	s_add_nc_u64 s[0:1], s[0:1], 8
	v_or_b32_e32 v22, v24, v22
	s_delay_alu instid0(VALU_DEP_2)
	v_or_b32_e32 v23, v25, v23
	s_cbranch_scc1 .LBB3_155
.LBB3_156:                              ;   in Loop: Header=BB3_117 Depth=1
	s_wait_xcnt 0x0
	s_mov_b64 s[0:1], s[12:13]
	s_mov_b32 s17, 0
	s_cbranch_execz .LBB3_158
	s_branch .LBB3_159
.LBB3_157:                              ;   in Loop: Header=BB3_117 Depth=1
	s_wait_xcnt 0x0
	s_add_nc_u64 s[0:1], s[12:13], 8
                                        ; implicit-def: $vgpr22_vgpr23
	s_mov_b32 s17, 0
.LBB3_158:                              ;   in Loop: Header=BB3_117 Depth=1
	global_load_b64 v[22:23], v11, s[12:13]
	s_add_co_i32 s17, s16, -8
.LBB3_159:                              ;   in Loop: Header=BB3_117 Depth=1
	s_delay_alu instid0(SALU_CYCLE_1)
	s_cmp_gt_u32 s17, 7
	s_cbranch_scc1 .LBB3_164
; %bb.160:                              ;   in Loop: Header=BB3_117 Depth=1
	v_mov_b64_e32 v[24:25], 0
	s_cmp_eq_u32 s17, 0
	s_cbranch_scc1 .LBB3_163
; %bb.161:                              ;   in Loop: Header=BB3_117 Depth=1
	s_wait_xcnt 0x0
	s_mov_b64 s[12:13], 0
	s_mov_b64 s[14:15], s[0:1]
.LBB3_162:                              ;   Parent Loop BB3_117 Depth=1
                                        ; =>  This Inner Loop Header: Depth=2
	global_load_u8 v3, v11, s[14:15]
	s_add_co_i32 s17, s17, -1
	s_wait_xcnt 0x0
	s_add_nc_u64 s[14:15], s[14:15], 1
	s_cmp_lg_u32 s17, 0
	s_wait_loadcnt 0x0
	v_and_b32_e32 v10, 0xffff, v3
	s_delay_alu instid0(VALU_DEP_1) | instskip(SKIP_1) | instid1(VALU_DEP_1)
	v_lshlrev_b64_e32 v[26:27], s12, v[10:11]
	s_add_nc_u64 s[12:13], s[12:13], 8
	v_or_b32_e32 v24, v26, v24
	s_delay_alu instid0(VALU_DEP_2)
	v_or_b32_e32 v25, v27, v25
	s_cbranch_scc1 .LBB3_162
.LBB3_163:                              ;   in Loop: Header=BB3_117 Depth=1
	s_wait_xcnt 0x0
	s_cbranch_execz .LBB3_165
	s_branch .LBB3_166
.LBB3_164:                              ;   in Loop: Header=BB3_117 Depth=1
	s_wait_xcnt 0x0
.LBB3_165:                              ;   in Loop: Header=BB3_117 Depth=1
	global_load_b64 v[24:25], v11, s[0:1]
.LBB3_166:                              ;   in Loop: Header=BB3_117 Depth=1
	s_wait_xcnt 0x0
	v_readfirstlane_b32 s0, v48
	v_mov_b64_e32 v[32:33], 0
	s_delay_alu instid0(VALU_DEP_2)
	v_cmp_eq_u32_e64 s0, s0, v48
	s_and_saveexec_b32 s1, s0
	s_cbranch_execz .LBB3_172
; %bb.167:                              ;   in Loop: Header=BB3_117 Depth=1
	global_load_b64 v[28:29], v11, s[2:3] offset:24 scope:SCOPE_SYS
	s_wait_loadcnt 0x0
	global_inv scope:SCOPE_SYS
	s_clause 0x1
	global_load_b64 v[26:27], v11, s[2:3] offset:40
	global_load_b64 v[32:33], v11, s[2:3]
	s_mov_b32 s12, exec_lo
	s_wait_loadcnt 0x1
	v_and_b32_e32 v26, v26, v28
	v_and_b32_e32 v27, v27, v29
	s_delay_alu instid0(VALU_DEP_1) | instskip(SKIP_1) | instid1(VALU_DEP_1)
	v_mul_u64_e32 v[26:27], 24, v[26:27]
	s_wait_loadcnt 0x0
	v_add_nc_u64_e32 v[26:27], v[32:33], v[26:27]
	global_load_b64 v[26:27], v[26:27], off scope:SCOPE_SYS
	s_wait_xcnt 0x0
	s_wait_loadcnt 0x0
	global_atomic_cmpswap_b64 v[32:33], v11, v[26:29], s[2:3] offset:24 th:TH_ATOMIC_RETURN scope:SCOPE_SYS
	s_wait_loadcnt 0x0
	global_inv scope:SCOPE_SYS
	s_wait_xcnt 0x0
	v_cmpx_ne_u64_e64 v[32:33], v[28:29]
	s_cbranch_execz .LBB3_171
; %bb.168:                              ;   in Loop: Header=BB3_117 Depth=1
	s_mov_b32 s13, 0
.LBB3_169:                              ;   Parent Loop BB3_117 Depth=1
                                        ; =>  This Inner Loop Header: Depth=2
	s_sleep 1
	s_clause 0x1
	global_load_b64 v[26:27], v11, s[2:3] offset:40
	global_load_b64 v[34:35], v11, s[2:3]
	v_mov_b64_e32 v[28:29], v[32:33]
	s_wait_loadcnt 0x1
	s_delay_alu instid0(VALU_DEP_1) | instskip(SKIP_1) | instid1(VALU_DEP_1)
	v_and_b32_e32 v3, v26, v28
	s_wait_loadcnt 0x0
	v_mad_nc_u64_u32 v[32:33], v3, 24, v[34:35]
	s_delay_alu instid0(VALU_DEP_3) | instskip(NEXT) | instid1(VALU_DEP_1)
	v_and_b32_e32 v3, v27, v29
	v_mad_u32 v33, v3, 24, v33
	global_load_b64 v[26:27], v[32:33], off scope:SCOPE_SYS
	s_wait_xcnt 0x0
	s_wait_loadcnt 0x0
	global_atomic_cmpswap_b64 v[32:33], v11, v[26:29], s[2:3] offset:24 th:TH_ATOMIC_RETURN scope:SCOPE_SYS
	s_wait_loadcnt 0x0
	global_inv scope:SCOPE_SYS
	v_cmp_eq_u64_e32 vcc_lo, v[32:33], v[28:29]
	s_or_b32 s13, vcc_lo, s13
	s_wait_xcnt 0x0
	s_and_not1_b32 exec_lo, exec_lo, s13
	s_cbranch_execnz .LBB3_169
; %bb.170:                              ;   in Loop: Header=BB3_117 Depth=1
	s_or_b32 exec_lo, exec_lo, s13
.LBB3_171:                              ;   in Loop: Header=BB3_117 Depth=1
	s_delay_alu instid0(SALU_CYCLE_1)
	s_or_b32 exec_lo, exec_lo, s12
.LBB3_172:                              ;   in Loop: Header=BB3_117 Depth=1
	s_delay_alu instid0(SALU_CYCLE_1)
	s_or_b32 exec_lo, exec_lo, s1
	s_clause 0x1
	global_load_b64 v[34:35], v11, s[2:3] offset:40
	global_load_b128 v[26:29], v11, s[2:3]
	v_readfirstlane_b32 s12, v32
	v_readfirstlane_b32 s13, v33
	s_mov_b32 s1, exec_lo
	s_wait_loadcnt 0x1
	v_and_b32_e32 v34, s12, v34
	v_and_b32_e32 v35, s13, v35
	s_delay_alu instid0(VALU_DEP_1) | instskip(SKIP_1) | instid1(VALU_DEP_1)
	v_mul_u64_e32 v[32:33], 24, v[34:35]
	s_wait_loadcnt 0x0
	v_add_nc_u64_e32 v[32:33], v[26:27], v[32:33]
	s_wait_xcnt 0x0
	s_and_saveexec_b32 s14, s0
	s_cbranch_execz .LBB3_174
; %bb.173:                              ;   in Loop: Header=BB3_117 Depth=1
	v_mov_b32_e32 v10, s1
	global_store_b128 v[32:33], v[10:13], off offset:8
.LBB3_174:                              ;   in Loop: Header=BB3_117 Depth=1
	s_wait_xcnt 0x0
	s_or_b32 exec_lo, exec_lo, s14
	v_cmp_lt_u64_e64 vcc_lo, s[6:7], 57
	v_lshlrev_b64_e32 v[34:35], 12, v[34:35]
	v_and_b32_e32 v6, 0xffffff1f, v6
	s_lshl_b32 s1, s10, 2
	s_delay_alu instid0(SALU_CYCLE_1) | instskip(SKIP_1) | instid1(VALU_DEP_3)
	s_add_co_i32 s1, s1, 28
	v_cndmask_b32_e32 v3, 0, v2, vcc_lo
	v_add_nc_u64_e32 v[28:29], v[28:29], v[34:35]
	s_delay_alu instid0(VALU_DEP_2) | instskip(NEXT) | instid1(VALU_DEP_2)
	v_or_b32_e32 v3, v6, v3
	v_readfirstlane_b32 s14, v28
	s_delay_alu instid0(VALU_DEP_3) | instskip(NEXT) | instid1(VALU_DEP_3)
	v_readfirstlane_b32 s15, v29
	v_and_or_b32 v6, 0x1e0, s1, v3
	s_clause 0x3
	global_store_b128 v30, v[6:9], s[14:15]
	global_store_b128 v30, v[14:17], s[14:15] offset:16
	global_store_b128 v30, v[18:21], s[14:15] offset:32
	;; [unrolled: 1-line block ×3, first 2 shown]
	s_wait_xcnt 0x0
	s_and_saveexec_b32 s1, s0
	s_cbranch_execz .LBB3_182
; %bb.175:                              ;   in Loop: Header=BB3_117 Depth=1
	s_clause 0x1
	global_load_b64 v[18:19], v11, s[2:3] offset:32 scope:SCOPE_SYS
	global_load_b64 v[6:7], v11, s[2:3] offset:40
	s_mov_b32 s14, exec_lo
	v_dual_mov_b32 v16, s12 :: v_dual_mov_b32 v17, s13
	s_wait_loadcnt 0x0
	v_and_b32_e32 v7, s13, v7
	v_and_b32_e32 v6, s12, v6
	s_delay_alu instid0(VALU_DEP_1) | instskip(NEXT) | instid1(VALU_DEP_1)
	v_mul_u64_e32 v[6:7], 24, v[6:7]
	v_add_nc_u64_e32 v[14:15], v[26:27], v[6:7]
	global_store_b64 v[14:15], v[18:19], off
	global_wb scope:SCOPE_SYS
	s_wait_storecnt 0x0
	s_wait_xcnt 0x0
	global_atomic_cmpswap_b64 v[8:9], v11, v[16:19], s[2:3] offset:32 th:TH_ATOMIC_RETURN scope:SCOPE_SYS
	s_wait_loadcnt 0x0
	v_cmpx_ne_u64_e64 v[8:9], v[18:19]
	s_cbranch_execz .LBB3_178
; %bb.176:                              ;   in Loop: Header=BB3_117 Depth=1
	s_mov_b32 s15, 0
.LBB3_177:                              ;   Parent Loop BB3_117 Depth=1
                                        ; =>  This Inner Loop Header: Depth=2
	v_dual_mov_b32 v6, s12 :: v_dual_mov_b32 v7, s13
	s_sleep 1
	global_store_b64 v[14:15], v[8:9], off
	global_wb scope:SCOPE_SYS
	s_wait_storecnt 0x0
	s_wait_xcnt 0x0
	global_atomic_cmpswap_b64 v[6:7], v11, v[6:9], s[2:3] offset:32 th:TH_ATOMIC_RETURN scope:SCOPE_SYS
	s_wait_loadcnt 0x0
	v_cmp_eq_u64_e32 vcc_lo, v[6:7], v[8:9]
	v_mov_b64_e32 v[8:9], v[6:7]
	s_or_b32 s15, vcc_lo, s15
	s_delay_alu instid0(SALU_CYCLE_1)
	s_and_not1_b32 exec_lo, exec_lo, s15
	s_cbranch_execnz .LBB3_177
.LBB3_178:                              ;   in Loop: Header=BB3_117 Depth=1
	s_or_b32 exec_lo, exec_lo, s14
	global_load_b64 v[6:7], v11, s[2:3] offset:16
	s_mov_b32 s15, exec_lo
	s_mov_b32 s14, exec_lo
	v_mbcnt_lo_u32_b32 v3, s15, 0
	s_wait_xcnt 0x0
	s_delay_alu instid0(VALU_DEP_1)
	v_cmpx_eq_u32_e32 0, v3
	s_cbranch_execz .LBB3_180
; %bb.179:                              ;   in Loop: Header=BB3_117 Depth=1
	s_bcnt1_i32_b32 s15, s15
	s_delay_alu instid0(SALU_CYCLE_1)
	v_mov_b32_e32 v10, s15
	global_wb scope:SCOPE_SYS
	s_wait_loadcnt 0x0
	s_wait_storecnt 0x0
	global_atomic_add_u64 v[6:7], v[10:11], off offset:8 scope:SCOPE_SYS
.LBB3_180:                              ;   in Loop: Header=BB3_117 Depth=1
	s_wait_xcnt 0x0
	s_or_b32 exec_lo, exec_lo, s14
	s_wait_loadcnt 0x0
	global_load_b64 v[8:9], v[6:7], off offset:16
	s_wait_loadcnt 0x0
	v_cmp_eq_u64_e32 vcc_lo, 0, v[8:9]
	s_cbranch_vccnz .LBB3_182
; %bb.181:                              ;   in Loop: Header=BB3_117 Depth=1
	global_load_b32 v10, v[6:7], off offset:24
	s_wait_loadcnt 0x0
	v_readfirstlane_b32 s14, v10
	global_wb scope:SCOPE_SYS
	s_wait_storecnt 0x0
	s_wait_xcnt 0x0
	global_store_b64 v[8:9], v[10:11], off scope:SCOPE_SYS
	s_and_b32 m0, s14, 0xffffff
	s_sendmsg sendmsg(MSG_INTERRUPT)
.LBB3_182:                              ;   in Loop: Header=BB3_117 Depth=1
	s_wait_xcnt 0x0
	s_or_b32 exec_lo, exec_lo, s1
	v_mov_b32_e32 v31, v11
	s_delay_alu instid0(VALU_DEP_1)
	v_add_nc_u64_e32 v[6:7], v[28:29], v[30:31]
	s_branch .LBB3_186
.LBB3_183:                              ;   in Loop: Header=BB3_186 Depth=2
	s_wait_xcnt 0x0
	s_or_b32 exec_lo, exec_lo, s1
	s_delay_alu instid0(VALU_DEP_1)
	v_readfirstlane_b32 s1, v3
	s_cmp_eq_u32 s1, 0
	s_cbranch_scc1 .LBB3_185
; %bb.184:                              ;   in Loop: Header=BB3_186 Depth=2
	s_sleep 1
	s_cbranch_execnz .LBB3_186
	s_branch .LBB3_188
.LBB3_185:                              ;   in Loop: Header=BB3_117 Depth=1
	s_branch .LBB3_188
.LBB3_186:                              ;   Parent Loop BB3_117 Depth=1
                                        ; =>  This Inner Loop Header: Depth=2
	v_mov_b32_e32 v3, 1
	s_and_saveexec_b32 s1, s0
	s_cbranch_execz .LBB3_183
; %bb.187:                              ;   in Loop: Header=BB3_186 Depth=2
	global_load_b32 v3, v[32:33], off offset:20 scope:SCOPE_SYS
	s_wait_loadcnt 0x0
	global_inv scope:SCOPE_SYS
	v_and_b32_e32 v3, 1, v3
	s_branch .LBB3_183
.LBB3_188:                              ;   in Loop: Header=BB3_117 Depth=1
	global_load_b64 v[6:7], v[6:7], off
	s_wait_xcnt 0x0
	s_and_saveexec_b32 s14, s0
	s_cbranch_execz .LBB3_116
; %bb.189:                              ;   in Loop: Header=BB3_117 Depth=1
	s_clause 0x2
	global_load_b64 v[8:9], v11, s[2:3] offset:40
	global_load_b64 v[18:19], v11, s[2:3] offset:24 scope:SCOPE_SYS
	global_load_b64 v[14:15], v11, s[2:3]
	s_wait_loadcnt 0x2
	v_readfirstlane_b32 s16, v8
	v_readfirstlane_b32 s17, v9
	s_add_nc_u64 s[0:1], s[16:17], 1
	s_delay_alu instid0(SALU_CYCLE_1) | instskip(NEXT) | instid1(SALU_CYCLE_1)
	s_add_nc_u64 s[12:13], s[0:1], s[12:13]
	s_cmp_eq_u64 s[12:13], 0
	s_cselect_b32 s1, s1, s13
	s_cselect_b32 s0, s0, s12
	s_delay_alu instid0(SALU_CYCLE_1) | instskip(SKIP_1) | instid1(SALU_CYCLE_1)
	v_dual_mov_b32 v17, s1 :: v_dual_mov_b32 v16, s0
	s_and_b64 s[12:13], s[0:1], s[16:17]
	s_mul_u64 s[12:13], s[12:13], 24
	s_wait_loadcnt 0x0
	v_add_nc_u64_e32 v[8:9], s[12:13], v[14:15]
	global_store_b64 v[8:9], v[18:19], off
	global_wb scope:SCOPE_SYS
	s_wait_storecnt 0x0
	s_wait_xcnt 0x0
	global_atomic_cmpswap_b64 v[16:17], v11, v[16:19], s[2:3] offset:24 th:TH_ATOMIC_RETURN scope:SCOPE_SYS
	s_wait_loadcnt 0x0
	v_cmp_ne_u64_e32 vcc_lo, v[16:17], v[18:19]
	s_and_b32 exec_lo, exec_lo, vcc_lo
	s_cbranch_execz .LBB3_116
; %bb.190:                              ;   in Loop: Header=BB3_117 Depth=1
	s_mov_b32 s12, 0
.LBB3_191:                              ;   Parent Loop BB3_117 Depth=1
                                        ; =>  This Inner Loop Header: Depth=2
	v_dual_mov_b32 v14, s0 :: v_dual_mov_b32 v15, s1
	s_sleep 1
	global_store_b64 v[8:9], v[16:17], off
	global_wb scope:SCOPE_SYS
	s_wait_storecnt 0x0
	s_wait_xcnt 0x0
	global_atomic_cmpswap_b64 v[14:15], v11, v[14:17], s[2:3] offset:24 th:TH_ATOMIC_RETURN scope:SCOPE_SYS
	s_wait_loadcnt 0x0
	v_cmp_eq_u64_e32 vcc_lo, v[14:15], v[16:17]
	v_mov_b64_e32 v[16:17], v[14:15]
	s_or_b32 s12, vcc_lo, s12
	s_delay_alu instid0(SALU_CYCLE_1)
	s_and_not1_b32 exec_lo, exec_lo, s12
	s_cbranch_execnz .LBB3_191
	s_branch .LBB3_116
.LBB3_192:
	s_or_b32 exec_lo, exec_lo, s6
	s_branch .LBB3_114
.LBB3_193:
	v_readfirstlane_b32 s0, v48
	v_mov_b64_e32 v[8:9], 0
	s_delay_alu instid0(VALU_DEP_2)
	v_cmp_eq_u32_e64 s0, s0, v48
	s_and_saveexec_b32 s1, s0
	s_cbranch_execz .LBB3_199
; %bb.194:
	s_wait_loadcnt 0x0
	v_mov_b32_e32 v0, 0
	s_mov_b32 s4, exec_lo
	global_load_b64 v[10:11], v0, s[2:3] offset:24 scope:SCOPE_SYS
	s_wait_loadcnt 0x0
	global_inv scope:SCOPE_SYS
	s_clause 0x1
	global_load_b64 v[2:3], v0, s[2:3] offset:40
	global_load_b64 v[8:9], v0, s[2:3]
	s_wait_loadcnt 0x1
	v_and_b32_e32 v2, v2, v10
	v_and_b32_e32 v3, v3, v11
	s_delay_alu instid0(VALU_DEP_1) | instskip(SKIP_1) | instid1(VALU_DEP_1)
	v_mul_u64_e32 v[2:3], 24, v[2:3]
	s_wait_loadcnt 0x0
	v_add_nc_u64_e32 v[2:3], v[8:9], v[2:3]
	global_load_b64 v[8:9], v[2:3], off scope:SCOPE_SYS
	s_wait_xcnt 0x0
	s_wait_loadcnt 0x0
	global_atomic_cmpswap_b64 v[8:9], v0, v[8:11], s[2:3] offset:24 th:TH_ATOMIC_RETURN scope:SCOPE_SYS
	s_wait_loadcnt 0x0
	global_inv scope:SCOPE_SYS
	s_wait_xcnt 0x0
	v_cmpx_ne_u64_e64 v[8:9], v[10:11]
	s_cbranch_execz .LBB3_198
; %bb.195:
	s_mov_b32 s5, 0
.LBB3_196:                              ; =>This Inner Loop Header: Depth=1
	s_sleep 1
	s_clause 0x1
	global_load_b64 v[2:3], v0, s[2:3] offset:40
	global_load_b64 v[12:13], v0, s[2:3]
	v_mov_b64_e32 v[10:11], v[8:9]
	s_wait_loadcnt 0x1
	s_delay_alu instid0(VALU_DEP_1) | instskip(SKIP_1) | instid1(VALU_DEP_1)
	v_and_b32_e32 v1, v2, v10
	s_wait_loadcnt 0x0
	v_mad_nc_u64_u32 v[8:9], v1, 24, v[12:13]
	s_delay_alu instid0(VALU_DEP_3) | instskip(NEXT) | instid1(VALU_DEP_1)
	v_and_b32_e32 v1, v3, v11
	v_mad_u32 v9, v1, 24, v9
	global_load_b64 v[8:9], v[8:9], off scope:SCOPE_SYS
	s_wait_xcnt 0x0
	s_wait_loadcnt 0x0
	global_atomic_cmpswap_b64 v[8:9], v0, v[8:11], s[2:3] offset:24 th:TH_ATOMIC_RETURN scope:SCOPE_SYS
	s_wait_loadcnt 0x0
	global_inv scope:SCOPE_SYS
	v_cmp_eq_u64_e32 vcc_lo, v[8:9], v[10:11]
	s_or_b32 s5, vcc_lo, s5
	s_wait_xcnt 0x0
	s_and_not1_b32 exec_lo, exec_lo, s5
	s_cbranch_execnz .LBB3_196
; %bb.197:
	s_or_b32 exec_lo, exec_lo, s5
.LBB3_198:
	s_delay_alu instid0(SALU_CYCLE_1)
	s_or_b32 exec_lo, exec_lo, s4
.LBB3_199:
	s_delay_alu instid0(SALU_CYCLE_1)
	s_or_b32 exec_lo, exec_lo, s1
	v_readfirstlane_b32 s4, v8
	v_mov_b32_e32 v31, 0
	v_readfirstlane_b32 s5, v9
	s_mov_b32 s1, exec_lo
	global_load_b64 v[10:11], v31, s[2:3] offset:40
	s_wait_loadcnt 0x1
	global_load_b128 v[0:3], v31, s[2:3]
	s_wait_loadcnt 0x1
	v_and_b32_e32 v8, s4, v10
	v_and_b32_e32 v9, s5, v11
	s_delay_alu instid0(VALU_DEP_1) | instskip(SKIP_1) | instid1(VALU_DEP_1)
	v_mul_u64_e32 v[10:11], 24, v[8:9]
	s_wait_loadcnt 0x0
	v_add_nc_u64_e32 v[10:11], v[0:1], v[10:11]
	s_wait_xcnt 0x0
	s_and_saveexec_b32 s6, s0
	s_cbranch_execz .LBB3_201
; %bb.200:
	v_mov_b64_e32 v[14:15], 0x100000002
	v_dual_mov_b32 v12, s1 :: v_dual_mov_b32 v13, v31
	global_store_b128 v[10:11], v[12:15], off offset:8
.LBB3_201:
	s_wait_xcnt 0x0
	s_or_b32 exec_lo, exec_lo, s6
	v_lshlrev_b64_e32 v[8:9], 12, v[8:9]
	s_mov_b32 s12, 0
	v_and_or_b32 v6, 0xffffff1f, v6, 32
	s_mov_b32 s14, s12
	s_mov_b32 s15, s12
	;; [unrolled: 1-line block ×3, first 2 shown]
	v_mov_b64_e32 v[16:17], s[14:15]
	v_add_nc_u64_e32 v[12:13], v[2:3], v[8:9]
	v_mov_b64_e32 v[14:15], s[12:13]
	v_dual_mov_b32 v8, v31 :: v_dual_mov_b32 v9, v31
	s_delay_alu instid0(VALU_DEP_3) | instskip(NEXT) | instid1(VALU_DEP_4)
	v_readfirstlane_b32 s6, v12
	v_readfirstlane_b32 s7, v13
	s_clause 0x3
	global_store_b128 v30, v[6:9], s[6:7]
	global_store_b128 v30, v[14:17], s[6:7] offset:16
	global_store_b128 v30, v[14:17], s[6:7] offset:32
	;; [unrolled: 1-line block ×3, first 2 shown]
	s_wait_xcnt 0x0
	s_and_saveexec_b32 s1, s0
	s_cbranch_execz .LBB3_209
; %bb.202:
	v_dual_mov_b32 v8, 0 :: v_dual_mov_b32 v15, s5
	s_mov_b32 s6, exec_lo
	s_clause 0x1
	global_load_b64 v[16:17], v8, s[2:3] offset:32 scope:SCOPE_SYS
	global_load_b64 v[2:3], v8, s[2:3] offset:40
	s_wait_loadcnt 0x0
	v_dual_mov_b32 v14, s4 :: v_dual_bitop2_b32 v3, s5, v3 bitop3:0x40
	v_and_b32_e32 v2, s4, v2
	s_delay_alu instid0(VALU_DEP_1) | instskip(NEXT) | instid1(VALU_DEP_1)
	v_mul_u64_e32 v[2:3], 24, v[2:3]
	v_add_nc_u64_e32 v[6:7], v[0:1], v[2:3]
	global_store_b64 v[6:7], v[16:17], off
	global_wb scope:SCOPE_SYS
	s_wait_storecnt 0x0
	s_wait_xcnt 0x0
	global_atomic_cmpswap_b64 v[2:3], v8, v[14:17], s[2:3] offset:32 th:TH_ATOMIC_RETURN scope:SCOPE_SYS
	s_wait_loadcnt 0x0
	v_cmpx_ne_u64_e64 v[2:3], v[16:17]
	s_cbranch_execz .LBB3_205
; %bb.203:
	s_mov_b32 s7, 0
.LBB3_204:                              ; =>This Inner Loop Header: Depth=1
	v_dual_mov_b32 v0, s4 :: v_dual_mov_b32 v1, s5
	s_sleep 1
	global_store_b64 v[6:7], v[2:3], off
	global_wb scope:SCOPE_SYS
	s_wait_storecnt 0x0
	s_wait_xcnt 0x0
	global_atomic_cmpswap_b64 v[0:1], v8, v[0:3], s[2:3] offset:32 th:TH_ATOMIC_RETURN scope:SCOPE_SYS
	s_wait_loadcnt 0x0
	v_cmp_eq_u64_e32 vcc_lo, v[0:1], v[2:3]
	v_mov_b64_e32 v[2:3], v[0:1]
	s_or_b32 s7, vcc_lo, s7
	s_delay_alu instid0(SALU_CYCLE_1)
	s_and_not1_b32 exec_lo, exec_lo, s7
	s_cbranch_execnz .LBB3_204
.LBB3_205:
	s_or_b32 exec_lo, exec_lo, s6
	v_mov_b32_e32 v3, 0
	s_mov_b32 s7, exec_lo
	s_mov_b32 s6, exec_lo
	v_mbcnt_lo_u32_b32 v2, s7, 0
	global_load_b64 v[0:1], v3, s[2:3] offset:16
	s_wait_xcnt 0x0
	v_cmpx_eq_u32_e32 0, v2
	s_cbranch_execz .LBB3_207
; %bb.206:
	s_bcnt1_i32_b32 s7, s7
	s_delay_alu instid0(SALU_CYCLE_1)
	v_mov_b32_e32 v2, s7
	global_wb scope:SCOPE_SYS
	s_wait_loadcnt 0x0
	s_wait_storecnt 0x0
	global_atomic_add_u64 v[0:1], v[2:3], off offset:8 scope:SCOPE_SYS
.LBB3_207:
	s_wait_xcnt 0x0
	s_or_b32 exec_lo, exec_lo, s6
	s_wait_loadcnt 0x0
	global_load_b64 v[2:3], v[0:1], off offset:16
	s_wait_loadcnt 0x0
	v_cmp_eq_u64_e32 vcc_lo, 0, v[2:3]
	s_cbranch_vccnz .LBB3_209
; %bb.208:
	global_load_b32 v0, v[0:1], off offset:24
	s_wait_xcnt 0x0
	v_mov_b32_e32 v1, 0
	s_wait_loadcnt 0x0
	v_readfirstlane_b32 s6, v0
	global_wb scope:SCOPE_SYS
	s_wait_storecnt 0x0
	global_store_b64 v[2:3], v[0:1], off scope:SCOPE_SYS
	s_and_b32 m0, s6, 0xffffff
	s_sendmsg sendmsg(MSG_INTERRUPT)
.LBB3_209:
	s_wait_xcnt 0x0
	s_or_b32 exec_lo, exec_lo, s1
	v_add_nc_u64_e32 v[0:1], v[12:13], v[30:31]
	s_branch .LBB3_213
.LBB3_210:                              ;   in Loop: Header=BB3_213 Depth=1
	s_wait_xcnt 0x0
	s_or_b32 exec_lo, exec_lo, s1
	s_delay_alu instid0(VALU_DEP_1)
	v_readfirstlane_b32 s1, v2
	s_cmp_eq_u32 s1, 0
	s_cbranch_scc1 .LBB3_212
; %bb.211:                              ;   in Loop: Header=BB3_213 Depth=1
	s_sleep 1
	s_cbranch_execnz .LBB3_213
	s_branch .LBB3_216
.LBB3_212:
	s_branch .LBB3_216
.LBB3_213:                              ; =>This Inner Loop Header: Depth=1
	v_mov_b32_e32 v2, 1
	s_and_saveexec_b32 s1, s0
	s_cbranch_execz .LBB3_210
; %bb.214:                              ;   in Loop: Header=BB3_213 Depth=1
	global_load_b32 v2, v[10:11], off offset:20 scope:SCOPE_SYS
	s_wait_loadcnt 0x0
	global_inv scope:SCOPE_SYS
	v_and_b32_e32 v2, 1, v2
	s_branch .LBB3_210
.LBB3_215:
	s_branch .LBB3_249
.LBB3_216:
	global_load_b64 v[0:1], v[0:1], off
	s_wait_xcnt 0x0
	s_and_saveexec_b32 s6, s0
	s_cbranch_execz .LBB3_220
; %bb.217:
	v_mov_b32_e32 v10, 0
	s_clause 0x2
	global_load_b64 v[2:3], v10, s[2:3] offset:40
	global_load_b64 v[14:15], v10, s[2:3] offset:24 scope:SCOPE_SYS
	global_load_b64 v[6:7], v10, s[2:3]
	s_wait_loadcnt 0x2
	v_readfirstlane_b32 s10, v2
	v_readfirstlane_b32 s11, v3
	s_add_nc_u64 s[0:1], s[10:11], 1
	s_delay_alu instid0(SALU_CYCLE_1) | instskip(NEXT) | instid1(SALU_CYCLE_1)
	s_add_nc_u64 s[4:5], s[0:1], s[4:5]
	s_cmp_eq_u64 s[4:5], 0
	s_cselect_b32 s1, s1, s5
	s_cselect_b32 s0, s0, s4
	v_mov_b32_e32 v13, s1
	s_and_b64 s[4:5], s[0:1], s[10:11]
	v_mov_b32_e32 v12, s0
	s_mul_u64 s[4:5], s[4:5], 24
	s_wait_loadcnt 0x0
	v_add_nc_u64_e32 v[2:3], s[4:5], v[6:7]
	global_store_b64 v[2:3], v[14:15], off
	global_wb scope:SCOPE_SYS
	s_wait_storecnt 0x0
	s_wait_xcnt 0x0
	global_atomic_cmpswap_b64 v[8:9], v10, v[12:15], s[2:3] offset:24 th:TH_ATOMIC_RETURN scope:SCOPE_SYS
	s_wait_loadcnt 0x0
	v_cmp_ne_u64_e32 vcc_lo, v[8:9], v[14:15]
	s_and_b32 exec_lo, exec_lo, vcc_lo
	s_cbranch_execz .LBB3_220
; %bb.218:
	s_mov_b32 s4, 0
.LBB3_219:                              ; =>This Inner Loop Header: Depth=1
	v_dual_mov_b32 v6, s0 :: v_dual_mov_b32 v7, s1
	s_sleep 1
	global_store_b64 v[2:3], v[8:9], off
	global_wb scope:SCOPE_SYS
	s_wait_storecnt 0x0
	s_wait_xcnt 0x0
	global_atomic_cmpswap_b64 v[6:7], v10, v[6:9], s[2:3] offset:24 th:TH_ATOMIC_RETURN scope:SCOPE_SYS
	s_wait_loadcnt 0x0
	v_cmp_eq_u64_e32 vcc_lo, v[6:7], v[8:9]
	v_mov_b64_e32 v[8:9], v[6:7]
	s_or_b32 s4, vcc_lo, s4
	s_delay_alu instid0(SALU_CYCLE_1)
	s_and_not1_b32 exec_lo, exec_lo, s4
	s_cbranch_execnz .LBB3_219
.LBB3_220:
	s_or_b32 exec_lo, exec_lo, s6
	s_get_pc_i64 s[4:5]
	s_add_nc_u64 s[4:5], s[4:5], .str.5@rel64+4
	s_delay_alu instid0(SALU_CYCLE_1)
	s_cmp_lg_u64 s[4:5], 0
	s_cbranch_scc1 .LBB3_115
.LBB3_221:
                                        ; implicit-def: $vgpr6_vgpr7
	s_cbranch_execz .LBB3_249
; %bb.222:
	v_readfirstlane_b32 s0, v48
	v_mov_b64_e32 v[2:3], 0
	s_delay_alu instid0(VALU_DEP_2)
	v_cmp_eq_u32_e64 s0, s0, v48
	s_and_saveexec_b32 s1, s0
	s_cbranch_execz .LBB3_228
; %bb.223:
	s_wait_loadcnt 0x0
	v_mov_b32_e32 v6, 0
	s_mov_b32 s4, exec_lo
	global_load_b64 v[10:11], v6, s[2:3] offset:24 scope:SCOPE_SYS
	s_wait_loadcnt 0x0
	global_inv scope:SCOPE_SYS
	s_clause 0x1
	global_load_b64 v[2:3], v6, s[2:3] offset:40
	global_load_b64 v[8:9], v6, s[2:3]
	s_wait_loadcnt 0x1
	v_and_b32_e32 v2, v2, v10
	v_and_b32_e32 v3, v3, v11
	s_delay_alu instid0(VALU_DEP_1) | instskip(SKIP_1) | instid1(VALU_DEP_1)
	v_mul_u64_e32 v[2:3], 24, v[2:3]
	s_wait_loadcnt 0x0
	v_add_nc_u64_e32 v[2:3], v[8:9], v[2:3]
	global_load_b64 v[8:9], v[2:3], off scope:SCOPE_SYS
	s_wait_xcnt 0x0
	s_wait_loadcnt 0x0
	global_atomic_cmpswap_b64 v[2:3], v6, v[8:11], s[2:3] offset:24 th:TH_ATOMIC_RETURN scope:SCOPE_SYS
	s_wait_loadcnt 0x0
	global_inv scope:SCOPE_SYS
	s_wait_xcnt 0x0
	v_cmpx_ne_u64_e64 v[2:3], v[10:11]
	s_cbranch_execz .LBB3_227
; %bb.224:
	s_mov_b32 s5, 0
.LBB3_225:                              ; =>This Inner Loop Header: Depth=1
	s_sleep 1
	s_clause 0x1
	global_load_b64 v[8:9], v6, s[2:3] offset:40
	global_load_b64 v[12:13], v6, s[2:3]
	v_mov_b64_e32 v[10:11], v[2:3]
	s_wait_loadcnt 0x1
	s_delay_alu instid0(VALU_DEP_1) | instskip(NEXT) | instid1(VALU_DEP_2)
	v_and_b32_e32 v2, v8, v10
	v_and_b32_e32 v7, v9, v11
	s_wait_loadcnt 0x0
	s_delay_alu instid0(VALU_DEP_2) | instskip(NEXT) | instid1(VALU_DEP_1)
	v_mad_nc_u64_u32 v[2:3], v2, 24, v[12:13]
	v_mad_u32 v3, v7, 24, v3
	global_load_b64 v[8:9], v[2:3], off scope:SCOPE_SYS
	s_wait_xcnt 0x0
	s_wait_loadcnt 0x0
	global_atomic_cmpswap_b64 v[2:3], v6, v[8:11], s[2:3] offset:24 th:TH_ATOMIC_RETURN scope:SCOPE_SYS
	s_wait_loadcnt 0x0
	global_inv scope:SCOPE_SYS
	v_cmp_eq_u64_e32 vcc_lo, v[2:3], v[10:11]
	s_or_b32 s5, vcc_lo, s5
	s_wait_xcnt 0x0
	s_and_not1_b32 exec_lo, exec_lo, s5
	s_cbranch_execnz .LBB3_225
; %bb.226:
	s_or_b32 exec_lo, exec_lo, s5
.LBB3_227:
	s_delay_alu instid0(SALU_CYCLE_1)
	s_or_b32 exec_lo, exec_lo, s4
.LBB3_228:
	s_delay_alu instid0(SALU_CYCLE_1)
	s_or_b32 exec_lo, exec_lo, s1
	v_readfirstlane_b32 s4, v2
	v_mov_b32_e32 v31, 0
	v_readfirstlane_b32 s5, v3
	s_mov_b32 s1, exec_lo
	global_load_b64 v[10:11], v31, s[2:3] offset:40
	s_wait_loadcnt 0x1
	global_load_b128 v[6:9], v31, s[2:3]
	s_wait_loadcnt 0x1
	v_and_b32_e32 v2, s4, v10
	v_and_b32_e32 v3, s5, v11
	s_delay_alu instid0(VALU_DEP_1) | instskip(SKIP_1) | instid1(VALU_DEP_1)
	v_mul_u64_e32 v[10:11], 24, v[2:3]
	s_wait_loadcnt 0x0
	v_add_nc_u64_e32 v[10:11], v[6:7], v[10:11]
	s_wait_xcnt 0x0
	s_and_saveexec_b32 s6, s0
	s_cbranch_execz .LBB3_230
; %bb.229:
	v_mov_b64_e32 v[14:15], 0x100000002
	v_dual_mov_b32 v12, s1 :: v_dual_mov_b32 v13, v31
	global_store_b128 v[10:11], v[12:15], off offset:8
.LBB3_230:
	s_wait_xcnt 0x0
	s_or_b32 exec_lo, exec_lo, s6
	v_lshlrev_b64_e32 v[2:3], 12, v[2:3]
	s_mov_b32 s12, 0
	v_and_or_b32 v0, 0xffffff1f, v0, 32
	s_mov_b32 s13, s12
	s_mov_b32 s14, s12
	;; [unrolled: 1-line block ×3, first 2 shown]
	v_mov_b64_e32 v[12:13], s[12:13]
	v_add_nc_u64_e32 v[8:9], v[8:9], v[2:3]
	v_mov_b64_e32 v[14:15], s[14:15]
	v_dual_mov_b32 v2, v31 :: v_dual_mov_b32 v3, v31
	s_delay_alu instid0(VALU_DEP_3) | instskip(NEXT) | instid1(VALU_DEP_4)
	v_readfirstlane_b32 s6, v8
	v_readfirstlane_b32 s7, v9
	s_clause 0x3
	global_store_b128 v30, v[0:3], s[6:7]
	global_store_b128 v30, v[12:15], s[6:7] offset:16
	global_store_b128 v30, v[12:15], s[6:7] offset:32
	;; [unrolled: 1-line block ×3, first 2 shown]
	s_wait_xcnt 0x0
	s_and_saveexec_b32 s1, s0
	s_cbranch_execz .LBB3_238
; %bb.231:
	v_dual_mov_b32 v12, 0 :: v_dual_mov_b32 v15, s5
	s_mov_b32 s6, exec_lo
	s_clause 0x1
	global_load_b64 v[16:17], v12, s[2:3] offset:32 scope:SCOPE_SYS
	global_load_b64 v[0:1], v12, s[2:3] offset:40
	s_wait_loadcnt 0x0
	v_dual_mov_b32 v14, s4 :: v_dual_bitop2_b32 v1, s5, v1 bitop3:0x40
	v_and_b32_e32 v0, s4, v0
	s_delay_alu instid0(VALU_DEP_1) | instskip(NEXT) | instid1(VALU_DEP_1)
	v_mul_u64_e32 v[0:1], 24, v[0:1]
	v_add_nc_u64_e32 v[6:7], v[6:7], v[0:1]
	global_store_b64 v[6:7], v[16:17], off
	global_wb scope:SCOPE_SYS
	s_wait_storecnt 0x0
	s_wait_xcnt 0x0
	global_atomic_cmpswap_b64 v[2:3], v12, v[14:17], s[2:3] offset:32 th:TH_ATOMIC_RETURN scope:SCOPE_SYS
	s_wait_loadcnt 0x0
	v_cmpx_ne_u64_e64 v[2:3], v[16:17]
	s_cbranch_execz .LBB3_234
; %bb.232:
	s_mov_b32 s7, 0
.LBB3_233:                              ; =>This Inner Loop Header: Depth=1
	v_dual_mov_b32 v0, s4 :: v_dual_mov_b32 v1, s5
	s_sleep 1
	global_store_b64 v[6:7], v[2:3], off
	global_wb scope:SCOPE_SYS
	s_wait_storecnt 0x0
	s_wait_xcnt 0x0
	global_atomic_cmpswap_b64 v[0:1], v12, v[0:3], s[2:3] offset:32 th:TH_ATOMIC_RETURN scope:SCOPE_SYS
	s_wait_loadcnt 0x0
	v_cmp_eq_u64_e32 vcc_lo, v[0:1], v[2:3]
	v_mov_b64_e32 v[2:3], v[0:1]
	s_or_b32 s7, vcc_lo, s7
	s_delay_alu instid0(SALU_CYCLE_1)
	s_and_not1_b32 exec_lo, exec_lo, s7
	s_cbranch_execnz .LBB3_233
.LBB3_234:
	s_or_b32 exec_lo, exec_lo, s6
	v_mov_b32_e32 v3, 0
	s_mov_b32 s7, exec_lo
	s_mov_b32 s6, exec_lo
	v_mbcnt_lo_u32_b32 v2, s7, 0
	global_load_b64 v[0:1], v3, s[2:3] offset:16
	s_wait_xcnt 0x0
	v_cmpx_eq_u32_e32 0, v2
	s_cbranch_execz .LBB3_236
; %bb.235:
	s_bcnt1_i32_b32 s7, s7
	s_delay_alu instid0(SALU_CYCLE_1)
	v_mov_b32_e32 v2, s7
	global_wb scope:SCOPE_SYS
	s_wait_loadcnt 0x0
	s_wait_storecnt 0x0
	global_atomic_add_u64 v[0:1], v[2:3], off offset:8 scope:SCOPE_SYS
.LBB3_236:
	s_wait_xcnt 0x0
	s_or_b32 exec_lo, exec_lo, s6
	s_wait_loadcnt 0x0
	global_load_b64 v[2:3], v[0:1], off offset:16
	s_wait_loadcnt 0x0
	v_cmp_eq_u64_e32 vcc_lo, 0, v[2:3]
	s_cbranch_vccnz .LBB3_238
; %bb.237:
	global_load_b32 v0, v[0:1], off offset:24
	s_wait_xcnt 0x0
	v_mov_b32_e32 v1, 0
	s_wait_loadcnt 0x0
	v_readfirstlane_b32 s6, v0
	global_wb scope:SCOPE_SYS
	s_wait_storecnt 0x0
	global_store_b64 v[2:3], v[0:1], off scope:SCOPE_SYS
	s_and_b32 m0, s6, 0xffffff
	s_sendmsg sendmsg(MSG_INTERRUPT)
.LBB3_238:
	s_wait_xcnt 0x0
	s_or_b32 exec_lo, exec_lo, s1
	v_add_nc_u64_e32 v[0:1], v[8:9], v[30:31]
	s_branch .LBB3_242
.LBB3_239:                              ;   in Loop: Header=BB3_242 Depth=1
	s_wait_xcnt 0x0
	s_or_b32 exec_lo, exec_lo, s1
	s_delay_alu instid0(VALU_DEP_1)
	v_readfirstlane_b32 s1, v2
	s_cmp_eq_u32 s1, 0
	s_cbranch_scc1 .LBB3_241
; %bb.240:                              ;   in Loop: Header=BB3_242 Depth=1
	s_sleep 1
	s_cbranch_execnz .LBB3_242
	s_branch .LBB3_244
.LBB3_241:
	s_branch .LBB3_244
.LBB3_242:                              ; =>This Inner Loop Header: Depth=1
	v_mov_b32_e32 v2, 1
	s_and_saveexec_b32 s1, s0
	s_cbranch_execz .LBB3_239
; %bb.243:                              ;   in Loop: Header=BB3_242 Depth=1
	global_load_b32 v2, v[10:11], off offset:20 scope:SCOPE_SYS
	s_wait_loadcnt 0x0
	global_inv scope:SCOPE_SYS
	v_and_b32_e32 v2, 1, v2
	s_branch .LBB3_239
.LBB3_244:
	global_load_b64 v[6:7], v[0:1], off
	s_wait_xcnt 0x0
	s_and_saveexec_b32 s6, s0
	s_cbranch_execz .LBB3_248
; %bb.245:
	v_mov_b32_e32 v10, 0
	s_clause 0x2
	global_load_b64 v[0:1], v10, s[2:3] offset:40
	global_load_b64 v[14:15], v10, s[2:3] offset:24 scope:SCOPE_SYS
	global_load_b64 v[2:3], v10, s[2:3]
	s_wait_loadcnt 0x2
	v_readfirstlane_b32 s10, v0
	v_readfirstlane_b32 s11, v1
	s_add_nc_u64 s[0:1], s[10:11], 1
	s_delay_alu instid0(SALU_CYCLE_1) | instskip(NEXT) | instid1(SALU_CYCLE_1)
	s_add_nc_u64 s[4:5], s[0:1], s[4:5]
	s_cmp_eq_u64 s[4:5], 0
	s_cselect_b32 s1, s1, s5
	s_cselect_b32 s0, s0, s4
	v_mov_b32_e32 v13, s1
	s_and_b64 s[4:5], s[0:1], s[10:11]
	v_mov_b32_e32 v12, s0
	s_mul_u64 s[4:5], s[4:5], 24
	s_wait_loadcnt 0x0
	v_add_nc_u64_e32 v[8:9], s[4:5], v[2:3]
	global_store_b64 v[8:9], v[14:15], off
	global_wb scope:SCOPE_SYS
	s_wait_storecnt 0x0
	s_wait_xcnt 0x0
	global_atomic_cmpswap_b64 v[2:3], v10, v[12:15], s[2:3] offset:24 th:TH_ATOMIC_RETURN scope:SCOPE_SYS
	s_wait_loadcnt 0x0
	v_cmp_ne_u64_e32 vcc_lo, v[2:3], v[14:15]
	s_and_b32 exec_lo, exec_lo, vcc_lo
	s_cbranch_execz .LBB3_248
; %bb.246:
	s_mov_b32 s4, 0
.LBB3_247:                              ; =>This Inner Loop Header: Depth=1
	v_dual_mov_b32 v0, s0 :: v_dual_mov_b32 v1, s1
	s_sleep 1
	global_store_b64 v[8:9], v[2:3], off
	global_wb scope:SCOPE_SYS
	s_wait_storecnt 0x0
	s_wait_xcnt 0x0
	global_atomic_cmpswap_b64 v[0:1], v10, v[0:3], s[2:3] offset:24 th:TH_ATOMIC_RETURN scope:SCOPE_SYS
	s_wait_loadcnt 0x0
	v_cmp_eq_u64_e32 vcc_lo, v[0:1], v[2:3]
	v_mov_b64_e32 v[2:3], v[0:1]
	s_or_b32 s4, vcc_lo, s4
	s_delay_alu instid0(SALU_CYCLE_1)
	s_and_not1_b32 exec_lo, exec_lo, s4
	s_cbranch_execnz .LBB3_247
.LBB3_248:
	s_or_b32 exec_lo, exec_lo, s6
.LBB3_249:
	v_readfirstlane_b32 s0, v48
	v_mov_b64_e32 v[8:9], 0
	s_delay_alu instid0(VALU_DEP_2)
	v_cmp_eq_u32_e64 s0, s0, v48
	s_and_saveexec_b32 s1, s0
	s_cbranch_execz .LBB3_255
; %bb.250:
	s_wait_loadcnt 0x0
	v_mov_b32_e32 v0, 0
	s_mov_b32 s4, exec_lo
	global_load_b64 v[10:11], v0, s[2:3] offset:24 scope:SCOPE_SYS
	s_wait_loadcnt 0x0
	global_inv scope:SCOPE_SYS
	s_clause 0x1
	global_load_b64 v[2:3], v0, s[2:3] offset:40
	global_load_b64 v[8:9], v0, s[2:3]
	s_wait_loadcnt 0x1
	v_and_b32_e32 v2, v2, v10
	v_and_b32_e32 v3, v3, v11
	s_delay_alu instid0(VALU_DEP_1) | instskip(SKIP_1) | instid1(VALU_DEP_1)
	v_mul_u64_e32 v[2:3], 24, v[2:3]
	s_wait_loadcnt 0x0
	v_add_nc_u64_e32 v[2:3], v[8:9], v[2:3]
	global_load_b64 v[8:9], v[2:3], off scope:SCOPE_SYS
	s_wait_xcnt 0x0
	s_wait_loadcnt 0x0
	global_atomic_cmpswap_b64 v[8:9], v0, v[8:11], s[2:3] offset:24 th:TH_ATOMIC_RETURN scope:SCOPE_SYS
	s_wait_loadcnt 0x0
	global_inv scope:SCOPE_SYS
	s_wait_xcnt 0x0
	v_cmpx_ne_u64_e64 v[8:9], v[10:11]
	s_cbranch_execz .LBB3_254
; %bb.251:
	s_mov_b32 s5, 0
.LBB3_252:                              ; =>This Inner Loop Header: Depth=1
	s_sleep 1
	s_clause 0x1
	global_load_b64 v[2:3], v0, s[2:3] offset:40
	global_load_b64 v[12:13], v0, s[2:3]
	v_mov_b64_e32 v[10:11], v[8:9]
	s_wait_loadcnt 0x1
	s_delay_alu instid0(VALU_DEP_1) | instskip(SKIP_1) | instid1(VALU_DEP_1)
	v_and_b32_e32 v1, v2, v10
	s_wait_loadcnt 0x0
	v_mad_nc_u64_u32 v[8:9], v1, 24, v[12:13]
	s_delay_alu instid0(VALU_DEP_3) | instskip(NEXT) | instid1(VALU_DEP_1)
	v_and_b32_e32 v1, v3, v11
	v_mad_u32 v9, v1, 24, v9
	global_load_b64 v[8:9], v[8:9], off scope:SCOPE_SYS
	s_wait_xcnt 0x0
	s_wait_loadcnt 0x0
	global_atomic_cmpswap_b64 v[8:9], v0, v[8:11], s[2:3] offset:24 th:TH_ATOMIC_RETURN scope:SCOPE_SYS
	s_wait_loadcnt 0x0
	global_inv scope:SCOPE_SYS
	v_cmp_eq_u64_e32 vcc_lo, v[8:9], v[10:11]
	s_or_b32 s5, vcc_lo, s5
	s_wait_xcnt 0x0
	s_and_not1_b32 exec_lo, exec_lo, s5
	s_cbranch_execnz .LBB3_252
; %bb.253:
	s_or_b32 exec_lo, exec_lo, s5
.LBB3_254:
	s_delay_alu instid0(SALU_CYCLE_1)
	s_or_b32 exec_lo, exec_lo, s4
.LBB3_255:
	s_delay_alu instid0(SALU_CYCLE_1)
	s_or_b32 exec_lo, exec_lo, s1
	v_readfirstlane_b32 s4, v8
	v_mov_b32_e32 v31, 0
	v_readfirstlane_b32 s5, v9
	s_mov_b32 s1, exec_lo
	global_load_b64 v[10:11], v31, s[2:3] offset:40
	s_wait_loadcnt 0x1
	global_load_b128 v[0:3], v31, s[2:3]
	s_wait_loadcnt 0x1
	v_and_b32_e32 v8, s4, v10
	v_and_b32_e32 v9, s5, v11
	s_delay_alu instid0(VALU_DEP_1) | instskip(SKIP_1) | instid1(VALU_DEP_1)
	v_mul_u64_e32 v[10:11], 24, v[8:9]
	s_wait_loadcnt 0x0
	v_add_nc_u64_e32 v[10:11], v[0:1], v[10:11]
	s_wait_xcnt 0x0
	s_and_saveexec_b32 s6, s0
	s_cbranch_execz .LBB3_257
; %bb.256:
	v_mov_b64_e32 v[14:15], 0x100000002
	v_dual_mov_b32 v12, s1 :: v_dual_mov_b32 v13, v31
	global_store_b128 v[10:11], v[12:15], off offset:8
.LBB3_257:
	s_wait_xcnt 0x0
	s_or_b32 exec_lo, exec_lo, s6
	v_lshlrev_b64_e32 v[8:9], 12, v[8:9]
	s_mov_b32 s12, 0
	v_and_or_b32 v6, 0xffffff1f, v6, 32
	s_mov_b32 s14, s12
	s_mov_b32 s15, s12
	;; [unrolled: 1-line block ×3, first 2 shown]
	v_mov_b64_e32 v[16:17], s[14:15]
	v_add_nc_u64_e32 v[12:13], v[2:3], v[8:9]
	v_mov_b64_e32 v[14:15], s[12:13]
	v_dual_mov_b32 v8, 0x331 :: v_dual_mov_b32 v9, v31
	s_delay_alu instid0(VALU_DEP_3) | instskip(NEXT) | instid1(VALU_DEP_4)
	v_readfirstlane_b32 s6, v12
	v_readfirstlane_b32 s7, v13
	s_clause 0x3
	global_store_b128 v30, v[6:9], s[6:7]
	global_store_b128 v30, v[14:17], s[6:7] offset:16
	global_store_b128 v30, v[14:17], s[6:7] offset:32
	;; [unrolled: 1-line block ×3, first 2 shown]
	s_wait_xcnt 0x0
	s_and_saveexec_b32 s1, s0
	s_cbranch_execz .LBB3_265
; %bb.258:
	v_dual_mov_b32 v8, 0 :: v_dual_mov_b32 v15, s5
	s_mov_b32 s6, exec_lo
	s_clause 0x1
	global_load_b64 v[16:17], v8, s[2:3] offset:32 scope:SCOPE_SYS
	global_load_b64 v[2:3], v8, s[2:3] offset:40
	s_wait_loadcnt 0x0
	v_dual_mov_b32 v14, s4 :: v_dual_bitop2_b32 v3, s5, v3 bitop3:0x40
	v_and_b32_e32 v2, s4, v2
	s_delay_alu instid0(VALU_DEP_1) | instskip(NEXT) | instid1(VALU_DEP_1)
	v_mul_u64_e32 v[2:3], 24, v[2:3]
	v_add_nc_u64_e32 v[6:7], v[0:1], v[2:3]
	global_store_b64 v[6:7], v[16:17], off
	global_wb scope:SCOPE_SYS
	s_wait_storecnt 0x0
	s_wait_xcnt 0x0
	global_atomic_cmpswap_b64 v[2:3], v8, v[14:17], s[2:3] offset:32 th:TH_ATOMIC_RETURN scope:SCOPE_SYS
	s_wait_loadcnt 0x0
	v_cmpx_ne_u64_e64 v[2:3], v[16:17]
	s_cbranch_execz .LBB3_261
; %bb.259:
	s_mov_b32 s7, 0
.LBB3_260:                              ; =>This Inner Loop Header: Depth=1
	v_dual_mov_b32 v0, s4 :: v_dual_mov_b32 v1, s5
	s_sleep 1
	global_store_b64 v[6:7], v[2:3], off
	global_wb scope:SCOPE_SYS
	s_wait_storecnt 0x0
	s_wait_xcnt 0x0
	global_atomic_cmpswap_b64 v[0:1], v8, v[0:3], s[2:3] offset:32 th:TH_ATOMIC_RETURN scope:SCOPE_SYS
	s_wait_loadcnt 0x0
	v_cmp_eq_u64_e32 vcc_lo, v[0:1], v[2:3]
	v_mov_b64_e32 v[2:3], v[0:1]
	s_or_b32 s7, vcc_lo, s7
	s_delay_alu instid0(SALU_CYCLE_1)
	s_and_not1_b32 exec_lo, exec_lo, s7
	s_cbranch_execnz .LBB3_260
.LBB3_261:
	s_or_b32 exec_lo, exec_lo, s6
	v_mov_b32_e32 v3, 0
	s_mov_b32 s7, exec_lo
	s_mov_b32 s6, exec_lo
	v_mbcnt_lo_u32_b32 v2, s7, 0
	global_load_b64 v[0:1], v3, s[2:3] offset:16
	s_wait_xcnt 0x0
	v_cmpx_eq_u32_e32 0, v2
	s_cbranch_execz .LBB3_263
; %bb.262:
	s_bcnt1_i32_b32 s7, s7
	s_delay_alu instid0(SALU_CYCLE_1)
	v_mov_b32_e32 v2, s7
	global_wb scope:SCOPE_SYS
	s_wait_loadcnt 0x0
	s_wait_storecnt 0x0
	global_atomic_add_u64 v[0:1], v[2:3], off offset:8 scope:SCOPE_SYS
.LBB3_263:
	s_wait_xcnt 0x0
	s_or_b32 exec_lo, exec_lo, s6
	s_wait_loadcnt 0x0
	global_load_b64 v[2:3], v[0:1], off offset:16
	s_wait_loadcnt 0x0
	v_cmp_eq_u64_e32 vcc_lo, 0, v[2:3]
	s_cbranch_vccnz .LBB3_265
; %bb.264:
	global_load_b32 v0, v[0:1], off offset:24
	s_wait_xcnt 0x0
	v_mov_b32_e32 v1, 0
	s_wait_loadcnt 0x0
	v_readfirstlane_b32 s6, v0
	global_wb scope:SCOPE_SYS
	s_wait_storecnt 0x0
	global_store_b64 v[2:3], v[0:1], off scope:SCOPE_SYS
	s_and_b32 m0, s6, 0xffffff
	s_sendmsg sendmsg(MSG_INTERRUPT)
.LBB3_265:
	s_wait_xcnt 0x0
	s_or_b32 exec_lo, exec_lo, s1
	v_add_nc_u64_e32 v[0:1], v[12:13], v[30:31]
	s_branch .LBB3_269
.LBB3_266:                              ;   in Loop: Header=BB3_269 Depth=1
	s_wait_xcnt 0x0
	s_or_b32 exec_lo, exec_lo, s1
	s_delay_alu instid0(VALU_DEP_1)
	v_readfirstlane_b32 s1, v2
	s_cmp_eq_u32 s1, 0
	s_cbranch_scc1 .LBB3_268
; %bb.267:                              ;   in Loop: Header=BB3_269 Depth=1
	s_sleep 1
	s_cbranch_execnz .LBB3_269
	s_branch .LBB3_271
.LBB3_268:
	s_branch .LBB3_271
.LBB3_269:                              ; =>This Inner Loop Header: Depth=1
	v_mov_b32_e32 v2, 1
	s_and_saveexec_b32 s1, s0
	s_cbranch_execz .LBB3_266
; %bb.270:                              ;   in Loop: Header=BB3_269 Depth=1
	global_load_b32 v2, v[10:11], off offset:20 scope:SCOPE_SYS
	s_wait_loadcnt 0x0
	global_inv scope:SCOPE_SYS
	v_and_b32_e32 v2, 1, v2
	s_branch .LBB3_266
.LBB3_271:
	global_load_b64 v[0:1], v[0:1], off
	s_wait_xcnt 0x0
	s_and_saveexec_b32 s6, s0
	s_cbranch_execz .LBB3_275
; %bb.272:
	v_mov_b32_e32 v10, 0
	s_clause 0x2
	global_load_b64 v[2:3], v10, s[2:3] offset:40
	global_load_b64 v[14:15], v10, s[2:3] offset:24 scope:SCOPE_SYS
	global_load_b64 v[6:7], v10, s[2:3]
	s_wait_loadcnt 0x2
	v_readfirstlane_b32 s10, v2
	v_readfirstlane_b32 s11, v3
	s_add_nc_u64 s[0:1], s[10:11], 1
	s_delay_alu instid0(SALU_CYCLE_1) | instskip(NEXT) | instid1(SALU_CYCLE_1)
	s_add_nc_u64 s[4:5], s[0:1], s[4:5]
	s_cmp_eq_u64 s[4:5], 0
	s_cselect_b32 s1, s1, s5
	s_cselect_b32 s0, s0, s4
	v_mov_b32_e32 v13, s1
	s_and_b64 s[4:5], s[0:1], s[10:11]
	v_mov_b32_e32 v12, s0
	s_mul_u64 s[4:5], s[4:5], 24
	s_wait_loadcnt 0x0
	v_add_nc_u64_e32 v[2:3], s[4:5], v[6:7]
	global_store_b64 v[2:3], v[14:15], off
	global_wb scope:SCOPE_SYS
	s_wait_storecnt 0x0
	s_wait_xcnt 0x0
	global_atomic_cmpswap_b64 v[8:9], v10, v[12:15], s[2:3] offset:24 th:TH_ATOMIC_RETURN scope:SCOPE_SYS
	s_wait_loadcnt 0x0
	v_cmp_ne_u64_e32 vcc_lo, v[8:9], v[14:15]
	s_and_b32 exec_lo, exec_lo, vcc_lo
	s_cbranch_execz .LBB3_275
; %bb.273:
	s_mov_b32 s4, 0
.LBB3_274:                              ; =>This Inner Loop Header: Depth=1
	v_dual_mov_b32 v6, s0 :: v_dual_mov_b32 v7, s1
	s_sleep 1
	global_store_b64 v[2:3], v[8:9], off
	global_wb scope:SCOPE_SYS
	s_wait_storecnt 0x0
	s_wait_xcnt 0x0
	global_atomic_cmpswap_b64 v[6:7], v10, v[6:9], s[2:3] offset:24 th:TH_ATOMIC_RETURN scope:SCOPE_SYS
	s_wait_loadcnt 0x0
	v_cmp_eq_u64_e32 vcc_lo, v[6:7], v[8:9]
	v_mov_b64_e32 v[8:9], v[6:7]
	s_or_b32 s4, vcc_lo, s4
	s_delay_alu instid0(SALU_CYCLE_1)
	s_and_not1_b32 exec_lo, exec_lo, s4
	s_cbranch_execnz .LBB3_274
.LBB3_275:
	s_or_b32 exec_lo, exec_lo, s6
	v_mov_b64_e32 v[2:3], v[4:5]
	s_mov_b32 s0, 0
.LBB3_276:                              ; =>This Inner Loop Header: Depth=1
	global_load_u8 v6, v[2:3], off
	s_wait_xcnt 0x0
	v_add_nc_u64_e32 v[2:3], 1, v[2:3]
	s_wait_loadcnt 0x0
	v_cmp_eq_u16_e32 vcc_lo, 0, v6
	s_or_b32 s0, vcc_lo, s0
	s_delay_alu instid0(SALU_CYCLE_1)
	s_and_not1_b32 exec_lo, exec_lo, s0
	s_cbranch_execnz .LBB3_276
; %bb.277:
	s_or_b32 exec_lo, exec_lo, s0
	s_delay_alu instid0(SALU_CYCLE_1)
	s_mov_b32 s0, exec_lo
	v_cmpx_ne_u64_e32 0, v[4:5]
	s_xor_b32 s6, exec_lo, s0
	s_cbranch_execz .LBB3_363
; %bb.278:
	v_dual_mov_b32 v31, 0 :: v_dual_sub_nc_u32 v26, v2, v4
	v_mov_b64_e32 v[8:9], 0x100000002
	v_and_b32_e32 v28, 2, v0
	s_delay_alu instid0(VALU_DEP_3)
	v_dual_ashrrev_i32 v27, 31, v26 :: v_dual_bitop2_b32 v0, -3, v0 bitop3:0x40
	s_mov_b32 s10, 0
	s_mov_b32 s7, 0
	s_branch .LBB3_280
.LBB3_279:                              ;   in Loop: Header=BB3_280 Depth=1
	s_or_b32 exec_lo, exec_lo, s11
	v_sub_nc_u64_e32 v[26:27], v[26:27], v[32:33]
	v_add_nc_u64_e32 v[4:5], v[4:5], v[32:33]
	s_delay_alu instid0(VALU_DEP_2) | instskip(SKIP_1) | instid1(SALU_CYCLE_1)
	v_cmp_eq_u64_e32 vcc_lo, 0, v[26:27]
	s_or_b32 s7, vcc_lo, s7
	s_and_not1_b32 exec_lo, exec_lo, s7
	s_cbranch_execz .LBB3_362
.LBB3_280:                              ; =>This Loop Header: Depth=1
                                        ;     Child Loop BB3_283 Depth 2
                                        ;     Child Loop BB3_291 Depth 2
	;; [unrolled: 1-line block ×11, first 2 shown]
	s_delay_alu instid0(VALU_DEP_1) | instskip(NEXT) | instid1(VALU_DEP_3)
	v_min_u64 v[32:33], v[26:27], 56
	v_add_nc_u64_e32 v[12:13], 8, v[4:5]
	s_mov_b32 s0, exec_lo
	v_cmpx_gt_u64_e32 8, v[26:27]
	s_xor_b32 s4, exec_lo, s0
	s_cbranch_execz .LBB3_286
; %bb.281:                              ;   in Loop: Header=BB3_280 Depth=1
	v_mov_b64_e32 v[2:3], 0
	s_mov_b32 s5, exec_lo
	v_cmpx_ne_u64_e32 0, v[26:27]
	s_cbranch_execz .LBB3_285
; %bb.282:                              ;   in Loop: Header=BB3_280 Depth=1
	v_mov_b64_e32 v[2:3], 0
	v_mov_b64_e32 v[10:11], v[4:5]
	v_lshlrev_b32_e32 v6, 3, v32
	s_mov_b64 s[0:1], 0
	s_mov_b32 s11, 0
.LBB3_283:                              ;   Parent Loop BB3_280 Depth=1
                                        ; =>  This Inner Loop Header: Depth=2
	global_load_u8 v7, v[10:11], off
	v_mov_b32_e32 v13, s10
	s_wait_xcnt 0x0
	v_add_nc_u64_e32 v[10:11], 1, v[10:11]
	s_wait_loadcnt 0x0
	v_and_b32_e32 v12, 0xffff, v7
	s_delay_alu instid0(VALU_DEP_1) | instskip(SKIP_1) | instid1(SALU_CYCLE_1)
	v_lshlrev_b64_e32 v[12:13], s0, v[12:13]
	s_add_nc_u64 s[0:1], s[0:1], 8
	v_cmp_eq_u32_e32 vcc_lo, s0, v6
	s_delay_alu instid0(VALU_DEP_2) | instskip(NEXT) | instid1(VALU_DEP_3)
	v_or_b32_e32 v3, v13, v3
	v_or_b32_e32 v2, v12, v2
	s_or_b32 s11, vcc_lo, s11
	s_delay_alu instid0(SALU_CYCLE_1)
	s_and_not1_b32 exec_lo, exec_lo, s11
	s_cbranch_execnz .LBB3_283
; %bb.284:                              ;   in Loop: Header=BB3_280 Depth=1
	s_or_b32 exec_lo, exec_lo, s11
.LBB3_285:                              ;   in Loop: Header=BB3_280 Depth=1
	s_delay_alu instid0(SALU_CYCLE_1)
	s_or_b32 exec_lo, exec_lo, s5
	v_mov_b64_e32 v[12:13], v[4:5]
.LBB3_286:                              ;   in Loop: Header=BB3_280 Depth=1
	s_or_saveexec_b32 s0, s4
	v_mov_b32_e32 v14, 0
	s_xor_b32 exec_lo, exec_lo, s0
	s_cbranch_execz .LBB3_288
; %bb.287:                              ;   in Loop: Header=BB3_280 Depth=1
	global_load_b64 v[2:3], v[4:5], off
	v_add_nc_u32_e32 v14, -8, v32
.LBB3_288:                              ;   in Loop: Header=BB3_280 Depth=1
	s_wait_xcnt 0x0
	s_or_b32 exec_lo, exec_lo, s0
	v_add_nc_u64_e32 v[6:7], 8, v[12:13]
                                        ; implicit-def: $vgpr10_vgpr11
	s_mov_b32 s0, exec_lo
	v_cmpx_gt_u32_e32 8, v14
	s_xor_b32 s11, exec_lo, s0
	s_cbranch_execz .LBB3_294
; %bb.289:                              ;   in Loop: Header=BB3_280 Depth=1
	v_mov_b64_e32 v[10:11], 0
	s_mov_b32 s12, exec_lo
	v_cmpx_ne_u32_e32 0, v14
	s_cbranch_execz .LBB3_293
; %bb.290:                              ;   in Loop: Header=BB3_280 Depth=1
	v_mov_b64_e32 v[10:11], 0
	s_mov_b64 s[0:1], 0
	s_mov_b32 s13, 0
	s_mov_b64 s[4:5], 0
.LBB3_291:                              ;   Parent Loop BB3_280 Depth=1
                                        ; =>  This Inner Loop Header: Depth=2
	s_delay_alu instid0(SALU_CYCLE_1) | instskip(SKIP_1) | instid1(SALU_CYCLE_1)
	v_add_nc_u64_e32 v[6:7], s[4:5], v[12:13]
	s_add_nc_u64 s[4:5], s[4:5], 1
	v_cmp_eq_u32_e32 vcc_lo, s4, v14
	global_load_u8 v6, v[6:7], off
	s_wait_xcnt 0x0
	v_mov_b32_e32 v7, s10
	s_or_b32 s13, vcc_lo, s13
	s_wait_loadcnt 0x0
	v_and_b32_e32 v6, 0xffff, v6
	s_delay_alu instid0(VALU_DEP_1) | instskip(SKIP_1) | instid1(VALU_DEP_1)
	v_lshlrev_b64_e32 v[6:7], s0, v[6:7]
	s_add_nc_u64 s[0:1], s[0:1], 8
	v_or_b32_e32 v11, v7, v11
	s_delay_alu instid0(VALU_DEP_2)
	v_or_b32_e32 v10, v6, v10
	s_and_not1_b32 exec_lo, exec_lo, s13
	s_cbranch_execnz .LBB3_291
; %bb.292:                              ;   in Loop: Header=BB3_280 Depth=1
	s_or_b32 exec_lo, exec_lo, s13
.LBB3_293:                              ;   in Loop: Header=BB3_280 Depth=1
	s_delay_alu instid0(SALU_CYCLE_1)
	s_or_b32 exec_lo, exec_lo, s12
	v_mov_b64_e32 v[6:7], v[12:13]
                                        ; implicit-def: $vgpr14
.LBB3_294:                              ;   in Loop: Header=BB3_280 Depth=1
	s_or_saveexec_b32 s0, s11
	v_mov_b32_e32 v15, 0
	s_xor_b32 exec_lo, exec_lo, s0
	s_cbranch_execz .LBB3_296
; %bb.295:                              ;   in Loop: Header=BB3_280 Depth=1
	global_load_b64 v[10:11], v[12:13], off
	v_add_nc_u32_e32 v15, -8, v14
.LBB3_296:                              ;   in Loop: Header=BB3_280 Depth=1
	s_wait_xcnt 0x0
	s_or_b32 exec_lo, exec_lo, s0
	v_add_nc_u64_e32 v[16:17], 8, v[6:7]
	s_mov_b32 s0, exec_lo
	v_cmpx_gt_u32_e32 8, v15
	s_xor_b32 s11, exec_lo, s0
	s_cbranch_execz .LBB3_302
; %bb.297:                              ;   in Loop: Header=BB3_280 Depth=1
	v_mov_b64_e32 v[12:13], 0
	s_mov_b32 s12, exec_lo
	v_cmpx_ne_u32_e32 0, v15
	s_cbranch_execz .LBB3_301
; %bb.298:                              ;   in Loop: Header=BB3_280 Depth=1
	v_mov_b64_e32 v[12:13], 0
	s_mov_b64 s[0:1], 0
	s_mov_b32 s13, 0
	s_mov_b64 s[4:5], 0
.LBB3_299:                              ;   Parent Loop BB3_280 Depth=1
                                        ; =>  This Inner Loop Header: Depth=2
	s_delay_alu instid0(SALU_CYCLE_1) | instskip(SKIP_1) | instid1(SALU_CYCLE_1)
	v_add_nc_u64_e32 v[16:17], s[4:5], v[6:7]
	s_add_nc_u64 s[4:5], s[4:5], 1
	v_cmp_eq_u32_e32 vcc_lo, s4, v15
	global_load_u8 v14, v[16:17], off
	s_wait_xcnt 0x0
	v_mov_b32_e32 v17, s10
	s_or_b32 s13, vcc_lo, s13
	s_wait_loadcnt 0x0
	v_and_b32_e32 v16, 0xffff, v14
	s_delay_alu instid0(VALU_DEP_1) | instskip(SKIP_1) | instid1(VALU_DEP_1)
	v_lshlrev_b64_e32 v[16:17], s0, v[16:17]
	s_add_nc_u64 s[0:1], s[0:1], 8
	v_or_b32_e32 v13, v17, v13
	s_delay_alu instid0(VALU_DEP_2)
	v_or_b32_e32 v12, v16, v12
	s_and_not1_b32 exec_lo, exec_lo, s13
	s_cbranch_execnz .LBB3_299
; %bb.300:                              ;   in Loop: Header=BB3_280 Depth=1
	s_or_b32 exec_lo, exec_lo, s13
.LBB3_301:                              ;   in Loop: Header=BB3_280 Depth=1
	s_delay_alu instid0(SALU_CYCLE_1)
	s_or_b32 exec_lo, exec_lo, s12
	v_mov_b64_e32 v[16:17], v[6:7]
                                        ; implicit-def: $vgpr15
.LBB3_302:                              ;   in Loop: Header=BB3_280 Depth=1
	s_or_saveexec_b32 s0, s11
	v_mov_b32_e32 v18, 0
	s_xor_b32 exec_lo, exec_lo, s0
	s_cbranch_execz .LBB3_304
; %bb.303:                              ;   in Loop: Header=BB3_280 Depth=1
	global_load_b64 v[12:13], v[6:7], off
	v_add_nc_u32_e32 v18, -8, v15
.LBB3_304:                              ;   in Loop: Header=BB3_280 Depth=1
	s_wait_xcnt 0x0
	s_or_b32 exec_lo, exec_lo, s0
	v_add_nc_u64_e32 v[6:7], 8, v[16:17]
                                        ; implicit-def: $vgpr14_vgpr15
	s_mov_b32 s0, exec_lo
	v_cmpx_gt_u32_e32 8, v18
	s_xor_b32 s11, exec_lo, s0
	s_cbranch_execz .LBB3_310
; %bb.305:                              ;   in Loop: Header=BB3_280 Depth=1
	v_mov_b64_e32 v[14:15], 0
	s_mov_b32 s12, exec_lo
	v_cmpx_ne_u32_e32 0, v18
	s_cbranch_execz .LBB3_309
; %bb.306:                              ;   in Loop: Header=BB3_280 Depth=1
	v_mov_b64_e32 v[14:15], 0
	s_mov_b64 s[0:1], 0
	s_mov_b32 s13, 0
	s_mov_b64 s[4:5], 0
.LBB3_307:                              ;   Parent Loop BB3_280 Depth=1
                                        ; =>  This Inner Loop Header: Depth=2
	s_delay_alu instid0(SALU_CYCLE_1) | instskip(SKIP_1) | instid1(SALU_CYCLE_1)
	v_add_nc_u64_e32 v[6:7], s[4:5], v[16:17]
	s_add_nc_u64 s[4:5], s[4:5], 1
	v_cmp_eq_u32_e32 vcc_lo, s4, v18
	global_load_u8 v6, v[6:7], off
	s_wait_xcnt 0x0
	v_mov_b32_e32 v7, s10
	s_or_b32 s13, vcc_lo, s13
	s_wait_loadcnt 0x0
	v_and_b32_e32 v6, 0xffff, v6
	s_delay_alu instid0(VALU_DEP_1) | instskip(SKIP_1) | instid1(VALU_DEP_1)
	v_lshlrev_b64_e32 v[6:7], s0, v[6:7]
	s_add_nc_u64 s[0:1], s[0:1], 8
	v_or_b32_e32 v15, v7, v15
	s_delay_alu instid0(VALU_DEP_2)
	v_or_b32_e32 v14, v6, v14
	s_and_not1_b32 exec_lo, exec_lo, s13
	s_cbranch_execnz .LBB3_307
; %bb.308:                              ;   in Loop: Header=BB3_280 Depth=1
	s_or_b32 exec_lo, exec_lo, s13
.LBB3_309:                              ;   in Loop: Header=BB3_280 Depth=1
	s_delay_alu instid0(SALU_CYCLE_1)
	s_or_b32 exec_lo, exec_lo, s12
	v_mov_b64_e32 v[6:7], v[16:17]
                                        ; implicit-def: $vgpr18
.LBB3_310:                              ;   in Loop: Header=BB3_280 Depth=1
	s_or_saveexec_b32 s0, s11
	v_mov_b32_e32 v19, 0
	s_xor_b32 exec_lo, exec_lo, s0
	s_cbranch_execz .LBB3_312
; %bb.311:                              ;   in Loop: Header=BB3_280 Depth=1
	global_load_b64 v[14:15], v[16:17], off
	v_add_nc_u32_e32 v19, -8, v18
.LBB3_312:                              ;   in Loop: Header=BB3_280 Depth=1
	s_wait_xcnt 0x0
	s_or_b32 exec_lo, exec_lo, s0
	v_add_nc_u64_e32 v[20:21], 8, v[6:7]
	s_mov_b32 s0, exec_lo
	v_cmpx_gt_u32_e32 8, v19
	s_xor_b32 s11, exec_lo, s0
	s_cbranch_execz .LBB3_318
; %bb.313:                              ;   in Loop: Header=BB3_280 Depth=1
	v_mov_b64_e32 v[16:17], 0
	s_mov_b32 s12, exec_lo
	v_cmpx_ne_u32_e32 0, v19
	s_cbranch_execz .LBB3_317
; %bb.314:                              ;   in Loop: Header=BB3_280 Depth=1
	v_mov_b64_e32 v[16:17], 0
	s_mov_b64 s[0:1], 0
	s_mov_b32 s13, 0
	s_mov_b64 s[4:5], 0
.LBB3_315:                              ;   Parent Loop BB3_280 Depth=1
                                        ; =>  This Inner Loop Header: Depth=2
	s_delay_alu instid0(SALU_CYCLE_1) | instskip(SKIP_1) | instid1(SALU_CYCLE_1)
	v_add_nc_u64_e32 v[20:21], s[4:5], v[6:7]
	s_add_nc_u64 s[4:5], s[4:5], 1
	v_cmp_eq_u32_e32 vcc_lo, s4, v19
	global_load_u8 v18, v[20:21], off
	s_wait_xcnt 0x0
	v_mov_b32_e32 v21, s10
	s_or_b32 s13, vcc_lo, s13
	s_wait_loadcnt 0x0
	v_and_b32_e32 v20, 0xffff, v18
	s_delay_alu instid0(VALU_DEP_1) | instskip(SKIP_1) | instid1(VALU_DEP_1)
	v_lshlrev_b64_e32 v[20:21], s0, v[20:21]
	s_add_nc_u64 s[0:1], s[0:1], 8
	v_or_b32_e32 v17, v21, v17
	s_delay_alu instid0(VALU_DEP_2)
	v_or_b32_e32 v16, v20, v16
	s_and_not1_b32 exec_lo, exec_lo, s13
	s_cbranch_execnz .LBB3_315
; %bb.316:                              ;   in Loop: Header=BB3_280 Depth=1
	s_or_b32 exec_lo, exec_lo, s13
.LBB3_317:                              ;   in Loop: Header=BB3_280 Depth=1
	s_delay_alu instid0(SALU_CYCLE_1)
	s_or_b32 exec_lo, exec_lo, s12
	v_mov_b64_e32 v[20:21], v[6:7]
                                        ; implicit-def: $vgpr19
.LBB3_318:                              ;   in Loop: Header=BB3_280 Depth=1
	s_or_saveexec_b32 s0, s11
	v_mov_b32_e32 v22, 0
	s_xor_b32 exec_lo, exec_lo, s0
	s_cbranch_execz .LBB3_320
; %bb.319:                              ;   in Loop: Header=BB3_280 Depth=1
	global_load_b64 v[16:17], v[6:7], off
	v_add_nc_u32_e32 v22, -8, v19
.LBB3_320:                              ;   in Loop: Header=BB3_280 Depth=1
	s_wait_xcnt 0x0
	s_or_b32 exec_lo, exec_lo, s0
	v_add_nc_u64_e32 v[6:7], 8, v[20:21]
                                        ; implicit-def: $vgpr18_vgpr19
	s_mov_b32 s0, exec_lo
	v_cmpx_gt_u32_e32 8, v22
	s_xor_b32 s11, exec_lo, s0
	s_cbranch_execz .LBB3_326
; %bb.321:                              ;   in Loop: Header=BB3_280 Depth=1
	v_mov_b64_e32 v[18:19], 0
	s_mov_b32 s12, exec_lo
	v_cmpx_ne_u32_e32 0, v22
	s_cbranch_execz .LBB3_325
; %bb.322:                              ;   in Loop: Header=BB3_280 Depth=1
	v_mov_b64_e32 v[18:19], 0
	s_mov_b64 s[0:1], 0
	s_mov_b32 s13, 0
	s_mov_b64 s[4:5], 0
.LBB3_323:                              ;   Parent Loop BB3_280 Depth=1
                                        ; =>  This Inner Loop Header: Depth=2
	s_delay_alu instid0(SALU_CYCLE_1) | instskip(SKIP_1) | instid1(SALU_CYCLE_1)
	v_add_nc_u64_e32 v[6:7], s[4:5], v[20:21]
	s_add_nc_u64 s[4:5], s[4:5], 1
	v_cmp_eq_u32_e32 vcc_lo, s4, v22
	global_load_u8 v6, v[6:7], off
	s_wait_xcnt 0x0
	v_mov_b32_e32 v7, s10
	s_or_b32 s13, vcc_lo, s13
	s_wait_loadcnt 0x0
	v_and_b32_e32 v6, 0xffff, v6
	s_delay_alu instid0(VALU_DEP_1) | instskip(SKIP_1) | instid1(VALU_DEP_1)
	v_lshlrev_b64_e32 v[6:7], s0, v[6:7]
	s_add_nc_u64 s[0:1], s[0:1], 8
	v_or_b32_e32 v19, v7, v19
	s_delay_alu instid0(VALU_DEP_2)
	v_or_b32_e32 v18, v6, v18
	s_and_not1_b32 exec_lo, exec_lo, s13
	s_cbranch_execnz .LBB3_323
; %bb.324:                              ;   in Loop: Header=BB3_280 Depth=1
	s_or_b32 exec_lo, exec_lo, s13
.LBB3_325:                              ;   in Loop: Header=BB3_280 Depth=1
	s_delay_alu instid0(SALU_CYCLE_1)
	s_or_b32 exec_lo, exec_lo, s12
	v_mov_b64_e32 v[6:7], v[20:21]
                                        ; implicit-def: $vgpr22
.LBB3_326:                              ;   in Loop: Header=BB3_280 Depth=1
	s_or_saveexec_b32 s0, s11
	v_mov_b32_e32 v23, 0
	s_xor_b32 exec_lo, exec_lo, s0
	s_cbranch_execz .LBB3_328
; %bb.327:                              ;   in Loop: Header=BB3_280 Depth=1
	global_load_b64 v[18:19], v[20:21], off
	v_add_nc_u32_e32 v23, -8, v22
.LBB3_328:                              ;   in Loop: Header=BB3_280 Depth=1
	s_wait_xcnt 0x0
	s_or_b32 exec_lo, exec_lo, s0
	s_delay_alu instid0(SALU_CYCLE_1) | instskip(NEXT) | instid1(VALU_DEP_1)
	s_mov_b32 s0, exec_lo
	v_cmpx_gt_u32_e32 8, v23
	s_xor_b32 s4, exec_lo, s0
	s_cbranch_execz .LBB3_334
; %bb.329:                              ;   in Loop: Header=BB3_280 Depth=1
	v_mov_b64_e32 v[20:21], 0
	s_mov_b32 s5, exec_lo
	v_cmpx_ne_u32_e32 0, v23
	s_cbranch_execz .LBB3_333
; %bb.330:                              ;   in Loop: Header=BB3_280 Depth=1
	v_mov_b64_e32 v[20:21], 0
	s_mov_b64 s[0:1], 0
	s_mov_b32 s11, 0
.LBB3_331:                              ;   Parent Loop BB3_280 Depth=1
                                        ; =>  This Inner Loop Header: Depth=2
	global_load_u8 v22, v[6:7], off
	v_dual_mov_b32 v25, s10 :: v_dual_add_nc_u32 v23, -1, v23
	s_wait_xcnt 0x0
	v_add_nc_u64_e32 v[6:7], 1, v[6:7]
	s_delay_alu instid0(VALU_DEP_2) | instskip(SKIP_3) | instid1(VALU_DEP_1)
	v_cmp_eq_u32_e32 vcc_lo, 0, v23
	s_or_b32 s11, vcc_lo, s11
	s_wait_loadcnt 0x0
	v_and_b32_e32 v24, 0xffff, v22
	v_lshlrev_b64_e32 v[24:25], s0, v[24:25]
	s_add_nc_u64 s[0:1], s[0:1], 8
	s_delay_alu instid0(VALU_DEP_1) | instskip(NEXT) | instid1(VALU_DEP_2)
	v_or_b32_e32 v21, v25, v21
	v_or_b32_e32 v20, v24, v20
	s_and_not1_b32 exec_lo, exec_lo, s11
	s_cbranch_execnz .LBB3_331
; %bb.332:                              ;   in Loop: Header=BB3_280 Depth=1
	s_or_b32 exec_lo, exec_lo, s11
.LBB3_333:                              ;   in Loop: Header=BB3_280 Depth=1
	s_delay_alu instid0(SALU_CYCLE_1)
	s_or_b32 exec_lo, exec_lo, s5
                                        ; implicit-def: $vgpr6_vgpr7
.LBB3_334:                              ;   in Loop: Header=BB3_280 Depth=1
	s_and_not1_saveexec_b32 s0, s4
	s_cbranch_execz .LBB3_336
; %bb.335:                              ;   in Loop: Header=BB3_280 Depth=1
	global_load_b64 v[20:21], v[6:7], off
.LBB3_336:                              ;   in Loop: Header=BB3_280 Depth=1
	s_wait_xcnt 0x0
	s_or_b32 exec_lo, exec_lo, s0
	v_readfirstlane_b32 s0, v48
	v_mov_b64_e32 v[6:7], 0
	s_delay_alu instid0(VALU_DEP_2)
	v_cmp_eq_u32_e64 s0, s0, v48
	s_and_saveexec_b32 s1, s0
	s_cbranch_execz .LBB3_342
; %bb.337:                              ;   in Loop: Header=BB3_280 Depth=1
	global_load_b64 v[24:25], v31, s[2:3] offset:24 scope:SCOPE_SYS
	s_wait_loadcnt 0x0
	global_inv scope:SCOPE_SYS
	s_clause 0x1
	global_load_b64 v[6:7], v31, s[2:3] offset:40
	global_load_b64 v[22:23], v31, s[2:3]
	s_mov_b32 s4, exec_lo
	s_wait_loadcnt 0x1
	v_and_b32_e32 v6, v6, v24
	v_and_b32_e32 v7, v7, v25
	s_delay_alu instid0(VALU_DEP_1) | instskip(SKIP_1) | instid1(VALU_DEP_1)
	v_mul_u64_e32 v[6:7], 24, v[6:7]
	s_wait_loadcnt 0x0
	v_add_nc_u64_e32 v[6:7], v[22:23], v[6:7]
	global_load_b64 v[22:23], v[6:7], off scope:SCOPE_SYS
	s_wait_xcnt 0x0
	s_wait_loadcnt 0x0
	global_atomic_cmpswap_b64 v[6:7], v31, v[22:25], s[2:3] offset:24 th:TH_ATOMIC_RETURN scope:SCOPE_SYS
	s_wait_loadcnt 0x0
	global_inv scope:SCOPE_SYS
	s_wait_xcnt 0x0
	v_cmpx_ne_u64_e64 v[6:7], v[24:25]
	s_cbranch_execz .LBB3_341
; %bb.338:                              ;   in Loop: Header=BB3_280 Depth=1
	s_mov_b32 s5, 0
.LBB3_339:                              ;   Parent Loop BB3_280 Depth=1
                                        ; =>  This Inner Loop Header: Depth=2
	s_sleep 1
	s_clause 0x1
	global_load_b64 v[22:23], v31, s[2:3] offset:40
	global_load_b64 v[34:35], v31, s[2:3]
	v_mov_b64_e32 v[24:25], v[6:7]
	s_wait_loadcnt 0x1
	s_delay_alu instid0(VALU_DEP_1) | instskip(NEXT) | instid1(VALU_DEP_2)
	v_and_b32_e32 v6, v22, v24
	v_and_b32_e32 v22, v23, v25
	s_wait_loadcnt 0x0
	s_delay_alu instid0(VALU_DEP_2) | instskip(NEXT) | instid1(VALU_DEP_1)
	v_mad_nc_u64_u32 v[6:7], v6, 24, v[34:35]
	v_mad_u32 v7, v22, 24, v7
	global_load_b64 v[22:23], v[6:7], off scope:SCOPE_SYS
	s_wait_xcnt 0x0
	s_wait_loadcnt 0x0
	global_atomic_cmpswap_b64 v[6:7], v31, v[22:25], s[2:3] offset:24 th:TH_ATOMIC_RETURN scope:SCOPE_SYS
	s_wait_loadcnt 0x0
	global_inv scope:SCOPE_SYS
	v_cmp_eq_u64_e32 vcc_lo, v[6:7], v[24:25]
	s_or_b32 s5, vcc_lo, s5
	s_wait_xcnt 0x0
	s_and_not1_b32 exec_lo, exec_lo, s5
	s_cbranch_execnz .LBB3_339
; %bb.340:                              ;   in Loop: Header=BB3_280 Depth=1
	s_or_b32 exec_lo, exec_lo, s5
.LBB3_341:                              ;   in Loop: Header=BB3_280 Depth=1
	s_delay_alu instid0(SALU_CYCLE_1)
	s_or_b32 exec_lo, exec_lo, s4
.LBB3_342:                              ;   in Loop: Header=BB3_280 Depth=1
	s_delay_alu instid0(SALU_CYCLE_1)
	s_or_b32 exec_lo, exec_lo, s1
	s_clause 0x1
	global_load_b64 v[34:35], v31, s[2:3] offset:40
	global_load_b128 v[22:25], v31, s[2:3]
	v_readfirstlane_b32 s4, v6
	v_readfirstlane_b32 s5, v7
	s_mov_b32 s1, exec_lo
	s_wait_loadcnt 0x1
	v_and_b32_e32 v36, s4, v34
	v_and_b32_e32 v37, s5, v35
	s_delay_alu instid0(VALU_DEP_1) | instskip(SKIP_1) | instid1(VALU_DEP_1)
	v_mul_u64_e32 v[6:7], 24, v[36:37]
	s_wait_loadcnt 0x0
	v_add_nc_u64_e32 v[34:35], v[22:23], v[6:7]
	s_wait_xcnt 0x0
	s_and_saveexec_b32 s11, s0
	s_cbranch_execz .LBB3_344
; %bb.343:                              ;   in Loop: Header=BB3_280 Depth=1
	v_dual_mov_b32 v6, s1 :: v_dual_mov_b32 v7, v31
	global_store_b128 v[34:35], v[6:9], off offset:8
.LBB3_344:                              ;   in Loop: Header=BB3_280 Depth=1
	s_wait_xcnt 0x0
	s_or_b32 exec_lo, exec_lo, s11
	v_cmp_gt_u64_e32 vcc_lo, 57, v[26:27]
	v_lshlrev_b64_e32 v[6:7], 12, v[36:37]
	v_and_b32_e32 v0, 0xffffff1f, v0
	v_lshl_add_u32 v36, v32, 2, 28
	v_cndmask_b32_e32 v29, 0, v28, vcc_lo
	s_delay_alu instid0(VALU_DEP_4) | instskip(NEXT) | instid1(VALU_DEP_2)
	v_add_nc_u64_e32 v[6:7], v[24:25], v[6:7]
	v_or_b32_e32 v0, v0, v29
	s_delay_alu instid0(VALU_DEP_2) | instskip(NEXT) | instid1(VALU_DEP_3)
	v_readfirstlane_b32 s12, v6
	v_readfirstlane_b32 s13, v7
	s_delay_alu instid0(VALU_DEP_3)
	v_and_or_b32 v0, 0x1e0, v36, v0
	s_clause 0x3
	global_store_b128 v30, v[0:3], s[12:13]
	global_store_b128 v30, v[10:13], s[12:13] offset:16
	global_store_b128 v30, v[14:17], s[12:13] offset:32
	global_store_b128 v30, v[18:21], s[12:13] offset:48
	s_wait_xcnt 0x0
	s_and_saveexec_b32 s1, s0
	s_cbranch_execz .LBB3_352
; %bb.345:                              ;   in Loop: Header=BB3_280 Depth=1
	s_clause 0x1
	global_load_b64 v[14:15], v31, s[2:3] offset:32 scope:SCOPE_SYS
	global_load_b64 v[0:1], v31, s[2:3] offset:40
	s_mov_b32 s11, exec_lo
	v_dual_mov_b32 v12, s4 :: v_dual_mov_b32 v13, s5
	s_wait_loadcnt 0x0
	v_and_b32_e32 v1, s5, v1
	v_and_b32_e32 v0, s4, v0
	s_delay_alu instid0(VALU_DEP_1) | instskip(NEXT) | instid1(VALU_DEP_1)
	v_mul_u64_e32 v[0:1], 24, v[0:1]
	v_add_nc_u64_e32 v[10:11], v[22:23], v[0:1]
	global_store_b64 v[10:11], v[14:15], off
	global_wb scope:SCOPE_SYS
	s_wait_storecnt 0x0
	s_wait_xcnt 0x0
	global_atomic_cmpswap_b64 v[2:3], v31, v[12:15], s[2:3] offset:32 th:TH_ATOMIC_RETURN scope:SCOPE_SYS
	s_wait_loadcnt 0x0
	v_cmpx_ne_u64_e64 v[2:3], v[14:15]
	s_cbranch_execz .LBB3_348
; %bb.346:                              ;   in Loop: Header=BB3_280 Depth=1
	s_mov_b32 s12, 0
.LBB3_347:                              ;   Parent Loop BB3_280 Depth=1
                                        ; =>  This Inner Loop Header: Depth=2
	v_dual_mov_b32 v0, s4 :: v_dual_mov_b32 v1, s5
	s_sleep 1
	global_store_b64 v[10:11], v[2:3], off
	global_wb scope:SCOPE_SYS
	s_wait_storecnt 0x0
	s_wait_xcnt 0x0
	global_atomic_cmpswap_b64 v[0:1], v31, v[0:3], s[2:3] offset:32 th:TH_ATOMIC_RETURN scope:SCOPE_SYS
	s_wait_loadcnt 0x0
	v_cmp_eq_u64_e32 vcc_lo, v[0:1], v[2:3]
	v_mov_b64_e32 v[2:3], v[0:1]
	s_or_b32 s12, vcc_lo, s12
	s_delay_alu instid0(SALU_CYCLE_1)
	s_and_not1_b32 exec_lo, exec_lo, s12
	s_cbranch_execnz .LBB3_347
.LBB3_348:                              ;   in Loop: Header=BB3_280 Depth=1
	s_or_b32 exec_lo, exec_lo, s11
	global_load_b64 v[0:1], v31, s[2:3] offset:16
	s_mov_b32 s12, exec_lo
	s_mov_b32 s11, exec_lo
	v_mbcnt_lo_u32_b32 v2, s12, 0
	s_wait_xcnt 0x0
	s_delay_alu instid0(VALU_DEP_1)
	v_cmpx_eq_u32_e32 0, v2
	s_cbranch_execz .LBB3_350
; %bb.349:                              ;   in Loop: Header=BB3_280 Depth=1
	s_bcnt1_i32_b32 s12, s12
	s_delay_alu instid0(SALU_CYCLE_1)
	v_dual_mov_b32 v3, v31 :: v_dual_mov_b32 v2, s12
	global_wb scope:SCOPE_SYS
	s_wait_loadcnt 0x0
	s_wait_storecnt 0x0
	global_atomic_add_u64 v[0:1], v[2:3], off offset:8 scope:SCOPE_SYS
.LBB3_350:                              ;   in Loop: Header=BB3_280 Depth=1
	s_wait_xcnt 0x0
	s_or_b32 exec_lo, exec_lo, s11
	s_wait_loadcnt 0x0
	global_load_b64 v[2:3], v[0:1], off offset:16
	s_wait_loadcnt 0x0
	v_cmp_eq_u64_e32 vcc_lo, 0, v[2:3]
	s_cbranch_vccnz .LBB3_352
; %bb.351:                              ;   in Loop: Header=BB3_280 Depth=1
	global_load_b32 v0, v[0:1], off offset:24
	s_wait_xcnt 0x0
	v_mov_b32_e32 v1, v31
	s_wait_loadcnt 0x0
	v_readfirstlane_b32 s11, v0
	global_wb scope:SCOPE_SYS
	s_wait_storecnt 0x0
	global_store_b64 v[2:3], v[0:1], off scope:SCOPE_SYS
	s_and_b32 m0, s11, 0xffffff
	s_sendmsg sendmsg(MSG_INTERRUPT)
.LBB3_352:                              ;   in Loop: Header=BB3_280 Depth=1
	s_wait_xcnt 0x0
	s_or_b32 exec_lo, exec_lo, s1
	v_add_nc_u64_e32 v[0:1], v[6:7], v[30:31]
	s_branch .LBB3_356
.LBB3_353:                              ;   in Loop: Header=BB3_356 Depth=2
	s_wait_xcnt 0x0
	s_or_b32 exec_lo, exec_lo, s1
	s_delay_alu instid0(VALU_DEP_1)
	v_readfirstlane_b32 s1, v2
	s_cmp_eq_u32 s1, 0
	s_cbranch_scc1 .LBB3_355
; %bb.354:                              ;   in Loop: Header=BB3_356 Depth=2
	s_sleep 1
	s_cbranch_execnz .LBB3_356
	s_branch .LBB3_358
.LBB3_355:                              ;   in Loop: Header=BB3_280 Depth=1
	s_branch .LBB3_358
.LBB3_356:                              ;   Parent Loop BB3_280 Depth=1
                                        ; =>  This Inner Loop Header: Depth=2
	v_mov_b32_e32 v2, 1
	s_and_saveexec_b32 s1, s0
	s_cbranch_execz .LBB3_353
; %bb.357:                              ;   in Loop: Header=BB3_356 Depth=2
	global_load_b32 v2, v[34:35], off offset:20 scope:SCOPE_SYS
	s_wait_loadcnt 0x0
	global_inv scope:SCOPE_SYS
	v_and_b32_e32 v2, 1, v2
	s_branch .LBB3_353
.LBB3_358:                              ;   in Loop: Header=BB3_280 Depth=1
	global_load_b64 v[0:1], v[0:1], off
	s_wait_xcnt 0x0
	s_and_saveexec_b32 s11, s0
	s_cbranch_execz .LBB3_279
; %bb.359:                              ;   in Loop: Header=BB3_280 Depth=1
	s_clause 0x2
	global_load_b64 v[2:3], v31, s[2:3] offset:40
	global_load_b64 v[14:15], v31, s[2:3] offset:24 scope:SCOPE_SYS
	global_load_b64 v[6:7], v31, s[2:3]
	s_wait_loadcnt 0x2
	v_readfirstlane_b32 s12, v2
	v_readfirstlane_b32 s13, v3
	s_add_nc_u64 s[0:1], s[12:13], 1
	s_delay_alu instid0(SALU_CYCLE_1) | instskip(NEXT) | instid1(SALU_CYCLE_1)
	s_add_nc_u64 s[4:5], s[0:1], s[4:5]
	s_cmp_eq_u64 s[4:5], 0
	s_cselect_b32 s1, s1, s5
	s_cselect_b32 s0, s0, s4
	s_delay_alu instid0(SALU_CYCLE_1) | instskip(SKIP_1) | instid1(SALU_CYCLE_1)
	v_dual_mov_b32 v13, s1 :: v_dual_mov_b32 v12, s0
	s_and_b64 s[4:5], s[0:1], s[12:13]
	s_mul_u64 s[4:5], s[4:5], 24
	s_wait_loadcnt 0x0
	v_add_nc_u64_e32 v[2:3], s[4:5], v[6:7]
	global_store_b64 v[2:3], v[14:15], off
	global_wb scope:SCOPE_SYS
	s_wait_storecnt 0x0
	s_wait_xcnt 0x0
	global_atomic_cmpswap_b64 v[12:13], v31, v[12:15], s[2:3] offset:24 th:TH_ATOMIC_RETURN scope:SCOPE_SYS
	s_wait_loadcnt 0x0
	v_cmp_ne_u64_e32 vcc_lo, v[12:13], v[14:15]
	s_and_b32 exec_lo, exec_lo, vcc_lo
	s_cbranch_execz .LBB3_279
; %bb.360:                              ;   in Loop: Header=BB3_280 Depth=1
	s_mov_b32 s4, 0
.LBB3_361:                              ;   Parent Loop BB3_280 Depth=1
                                        ; =>  This Inner Loop Header: Depth=2
	v_dual_mov_b32 v10, s0 :: v_dual_mov_b32 v11, s1
	s_sleep 1
	global_store_b64 v[2:3], v[12:13], off
	global_wb scope:SCOPE_SYS
	s_wait_storecnt 0x0
	s_wait_xcnt 0x0
	global_atomic_cmpswap_b64 v[6:7], v31, v[10:13], s[2:3] offset:24 th:TH_ATOMIC_RETURN scope:SCOPE_SYS
	s_wait_loadcnt 0x0
	v_cmp_eq_u64_e32 vcc_lo, v[6:7], v[12:13]
	v_mov_b64_e32 v[12:13], v[6:7]
	s_or_b32 s4, vcc_lo, s4
	s_delay_alu instid0(SALU_CYCLE_1)
	s_and_not1_b32 exec_lo, exec_lo, s4
	s_cbranch_execnz .LBB3_361
	s_branch .LBB3_279
.LBB3_362:
	s_or_b32 exec_lo, exec_lo, s7
                                        ; implicit-def: $vgpr30
                                        ; implicit-def: $vgpr48
.LBB3_363:
	s_and_not1_saveexec_b32 s6, s6
	s_cbranch_execz .LBB3_391
; %bb.364:
	v_readfirstlane_b32 s0, v48
	v_mov_b64_e32 v[2:3], 0
	s_delay_alu instid0(VALU_DEP_2)
	v_cmp_eq_u32_e64 s0, s0, v48
	s_and_saveexec_b32 s1, s0
	s_cbranch_execz .LBB3_370
; %bb.365:
	v_mov_b32_e32 v4, 0
	s_mov_b32 s4, exec_lo
	global_load_b64 v[8:9], v4, s[2:3] offset:24 scope:SCOPE_SYS
	s_wait_loadcnt 0x0
	global_inv scope:SCOPE_SYS
	s_clause 0x1
	global_load_b64 v[2:3], v4, s[2:3] offset:40
	global_load_b64 v[6:7], v4, s[2:3]
	s_wait_loadcnt 0x1
	v_and_b32_e32 v2, v2, v8
	v_and_b32_e32 v3, v3, v9
	s_delay_alu instid0(VALU_DEP_1) | instskip(SKIP_1) | instid1(VALU_DEP_1)
	v_mul_u64_e32 v[2:3], 24, v[2:3]
	s_wait_loadcnt 0x0
	v_add_nc_u64_e32 v[2:3], v[6:7], v[2:3]
	global_load_b64 v[6:7], v[2:3], off scope:SCOPE_SYS
	s_wait_xcnt 0x0
	s_wait_loadcnt 0x0
	global_atomic_cmpswap_b64 v[2:3], v4, v[6:9], s[2:3] offset:24 th:TH_ATOMIC_RETURN scope:SCOPE_SYS
	s_wait_loadcnt 0x0
	global_inv scope:SCOPE_SYS
	s_wait_xcnt 0x0
	v_cmpx_ne_u64_e64 v[2:3], v[8:9]
	s_cbranch_execz .LBB3_369
; %bb.366:
	s_mov_b32 s5, 0
.LBB3_367:                              ; =>This Inner Loop Header: Depth=1
	s_sleep 1
	s_clause 0x1
	global_load_b64 v[6:7], v4, s[2:3] offset:40
	global_load_b64 v[10:11], v4, s[2:3]
	v_mov_b64_e32 v[8:9], v[2:3]
	s_wait_loadcnt 0x1
	s_delay_alu instid0(VALU_DEP_1) | instskip(NEXT) | instid1(VALU_DEP_2)
	v_and_b32_e32 v2, v6, v8
	v_and_b32_e32 v5, v7, v9
	s_wait_loadcnt 0x0
	s_delay_alu instid0(VALU_DEP_2) | instskip(NEXT) | instid1(VALU_DEP_1)
	v_mad_nc_u64_u32 v[2:3], v2, 24, v[10:11]
	v_mad_u32 v3, v5, 24, v3
	global_load_b64 v[6:7], v[2:3], off scope:SCOPE_SYS
	s_wait_xcnt 0x0
	s_wait_loadcnt 0x0
	global_atomic_cmpswap_b64 v[2:3], v4, v[6:9], s[2:3] offset:24 th:TH_ATOMIC_RETURN scope:SCOPE_SYS
	s_wait_loadcnt 0x0
	global_inv scope:SCOPE_SYS
	v_cmp_eq_u64_e32 vcc_lo, v[2:3], v[8:9]
	s_or_b32 s5, vcc_lo, s5
	s_wait_xcnt 0x0
	s_and_not1_b32 exec_lo, exec_lo, s5
	s_cbranch_execnz .LBB3_367
; %bb.368:
	s_or_b32 exec_lo, exec_lo, s5
.LBB3_369:
	s_delay_alu instid0(SALU_CYCLE_1)
	s_or_b32 exec_lo, exec_lo, s4
.LBB3_370:
	s_delay_alu instid0(SALU_CYCLE_1)
	s_or_b32 exec_lo, exec_lo, s1
	v_readfirstlane_b32 s4, v2
	v_mov_b32_e32 v31, 0
	v_readfirstlane_b32 s5, v3
	s_mov_b32 s1, exec_lo
	s_clause 0x1
	global_load_b64 v[8:9], v31, s[2:3] offset:40
	global_load_b128 v[4:7], v31, s[2:3]
	s_wait_loadcnt 0x1
	v_and_b32_e32 v2, s4, v8
	v_and_b32_e32 v3, s5, v9
	s_delay_alu instid0(VALU_DEP_1) | instskip(SKIP_1) | instid1(VALU_DEP_1)
	v_mul_u64_e32 v[8:9], 24, v[2:3]
	s_wait_loadcnt 0x0
	v_add_nc_u64_e32 v[8:9], v[4:5], v[8:9]
	s_wait_xcnt 0x0
	s_and_saveexec_b32 s7, s0
	s_cbranch_execz .LBB3_372
; %bb.371:
	v_mov_b64_e32 v[12:13], 0x100000002
	v_dual_mov_b32 v10, s1 :: v_dual_mov_b32 v11, v31
	global_store_b128 v[8:9], v[10:13], off offset:8
.LBB3_372:
	s_wait_xcnt 0x0
	s_or_b32 exec_lo, exec_lo, s7
	v_lshlrev_b64_e32 v[2:3], 12, v[2:3]
	s_mov_b32 s12, 0
	v_and_or_b32 v0, 0xffffff1f, v0, 32
	s_mov_b32 s13, s12
	s_mov_b32 s14, s12
	;; [unrolled: 1-line block ×3, first 2 shown]
	v_mov_b64_e32 v[10:11], s[12:13]
	v_add_nc_u64_e32 v[6:7], v[6:7], v[2:3]
	v_mov_b64_e32 v[12:13], s[14:15]
	v_dual_mov_b32 v2, v31 :: v_dual_mov_b32 v3, v31
	s_delay_alu instid0(VALU_DEP_3) | instskip(NEXT) | instid1(VALU_DEP_4)
	v_readfirstlane_b32 s10, v6
	v_readfirstlane_b32 s11, v7
	s_clause 0x3
	global_store_b128 v30, v[0:3], s[10:11]
	global_store_b128 v30, v[10:13], s[10:11] offset:16
	global_store_b128 v30, v[10:13], s[10:11] offset:32
	;; [unrolled: 1-line block ×3, first 2 shown]
	s_wait_xcnt 0x0
	s_and_saveexec_b32 s1, s0
	s_cbranch_execz .LBB3_380
; %bb.373:
	v_dual_mov_b32 v10, 0 :: v_dual_mov_b32 v13, s5
	s_mov_b32 s7, exec_lo
	s_clause 0x1
	global_load_b64 v[14:15], v10, s[2:3] offset:32 scope:SCOPE_SYS
	global_load_b64 v[0:1], v10, s[2:3] offset:40
	s_wait_loadcnt 0x0
	v_dual_mov_b32 v12, s4 :: v_dual_bitop2_b32 v1, s5, v1 bitop3:0x40
	v_and_b32_e32 v0, s4, v0
	s_delay_alu instid0(VALU_DEP_1) | instskip(NEXT) | instid1(VALU_DEP_1)
	v_mul_u64_e32 v[0:1], 24, v[0:1]
	v_add_nc_u64_e32 v[4:5], v[4:5], v[0:1]
	global_store_b64 v[4:5], v[14:15], off
	global_wb scope:SCOPE_SYS
	s_wait_storecnt 0x0
	s_wait_xcnt 0x0
	global_atomic_cmpswap_b64 v[2:3], v10, v[12:15], s[2:3] offset:32 th:TH_ATOMIC_RETURN scope:SCOPE_SYS
	s_wait_loadcnt 0x0
	v_cmpx_ne_u64_e64 v[2:3], v[14:15]
	s_cbranch_execz .LBB3_376
; %bb.374:
	s_mov_b32 s10, 0
.LBB3_375:                              ; =>This Inner Loop Header: Depth=1
	v_dual_mov_b32 v0, s4 :: v_dual_mov_b32 v1, s5
	s_sleep 1
	global_store_b64 v[4:5], v[2:3], off
	global_wb scope:SCOPE_SYS
	s_wait_storecnt 0x0
	s_wait_xcnt 0x0
	global_atomic_cmpswap_b64 v[0:1], v10, v[0:3], s[2:3] offset:32 th:TH_ATOMIC_RETURN scope:SCOPE_SYS
	s_wait_loadcnt 0x0
	v_cmp_eq_u64_e32 vcc_lo, v[0:1], v[2:3]
	v_mov_b64_e32 v[2:3], v[0:1]
	s_or_b32 s10, vcc_lo, s10
	s_delay_alu instid0(SALU_CYCLE_1)
	s_and_not1_b32 exec_lo, exec_lo, s10
	s_cbranch_execnz .LBB3_375
.LBB3_376:
	s_or_b32 exec_lo, exec_lo, s7
	v_mov_b32_e32 v3, 0
	s_mov_b32 s10, exec_lo
	s_mov_b32 s7, exec_lo
	v_mbcnt_lo_u32_b32 v2, s10, 0
	global_load_b64 v[0:1], v3, s[2:3] offset:16
	s_wait_xcnt 0x0
	v_cmpx_eq_u32_e32 0, v2
	s_cbranch_execz .LBB3_378
; %bb.377:
	s_bcnt1_i32_b32 s10, s10
	s_delay_alu instid0(SALU_CYCLE_1)
	v_mov_b32_e32 v2, s10
	global_wb scope:SCOPE_SYS
	s_wait_loadcnt 0x0
	s_wait_storecnt 0x0
	global_atomic_add_u64 v[0:1], v[2:3], off offset:8 scope:SCOPE_SYS
.LBB3_378:
	s_wait_xcnt 0x0
	s_or_b32 exec_lo, exec_lo, s7
	s_wait_loadcnt 0x0
	global_load_b64 v[2:3], v[0:1], off offset:16
	s_wait_loadcnt 0x0
	v_cmp_eq_u64_e32 vcc_lo, 0, v[2:3]
	s_cbranch_vccnz .LBB3_380
; %bb.379:
	global_load_b32 v0, v[0:1], off offset:24
	s_wait_xcnt 0x0
	v_mov_b32_e32 v1, 0
	s_wait_loadcnt 0x0
	v_readfirstlane_b32 s7, v0
	global_wb scope:SCOPE_SYS
	s_wait_storecnt 0x0
	global_store_b64 v[2:3], v[0:1], off scope:SCOPE_SYS
	s_and_b32 m0, s7, 0xffffff
	s_sendmsg sendmsg(MSG_INTERRUPT)
.LBB3_380:
	s_wait_xcnt 0x0
	s_or_b32 exec_lo, exec_lo, s1
	v_add_nc_u64_e32 v[0:1], v[6:7], v[30:31]
	s_branch .LBB3_384
.LBB3_381:                              ;   in Loop: Header=BB3_384 Depth=1
	s_wait_xcnt 0x0
	s_or_b32 exec_lo, exec_lo, s1
	s_delay_alu instid0(VALU_DEP_1)
	v_readfirstlane_b32 s1, v2
	s_cmp_eq_u32 s1, 0
	s_cbranch_scc1 .LBB3_383
; %bb.382:                              ;   in Loop: Header=BB3_384 Depth=1
	s_sleep 1
	s_cbranch_execnz .LBB3_384
	s_branch .LBB3_386
.LBB3_383:
	s_branch .LBB3_386
.LBB3_384:                              ; =>This Inner Loop Header: Depth=1
	v_mov_b32_e32 v2, 1
	s_and_saveexec_b32 s1, s0
	s_cbranch_execz .LBB3_381
; %bb.385:                              ;   in Loop: Header=BB3_384 Depth=1
	global_load_b32 v2, v[8:9], off offset:20 scope:SCOPE_SYS
	s_wait_loadcnt 0x0
	global_inv scope:SCOPE_SYS
	v_and_b32_e32 v2, 1, v2
	s_branch .LBB3_381
.LBB3_386:
	global_load_b64 v[0:1], v[0:1], off
	s_wait_xcnt 0x0
	s_and_saveexec_b32 s7, s0
	s_cbranch_execz .LBB3_390
; %bb.387:
	v_mov_b32_e32 v8, 0
	s_clause 0x2
	global_load_b64 v[2:3], v8, s[2:3] offset:40
	global_load_b64 v[12:13], v8, s[2:3] offset:24 scope:SCOPE_SYS
	global_load_b64 v[4:5], v8, s[2:3]
	s_wait_loadcnt 0x2
	v_readfirstlane_b32 s10, v2
	v_readfirstlane_b32 s11, v3
	s_add_nc_u64 s[0:1], s[10:11], 1
	s_delay_alu instid0(SALU_CYCLE_1) | instskip(NEXT) | instid1(SALU_CYCLE_1)
	s_add_nc_u64 s[4:5], s[0:1], s[4:5]
	s_cmp_eq_u64 s[4:5], 0
	s_cselect_b32 s1, s1, s5
	s_cselect_b32 s0, s0, s4
	v_mov_b32_e32 v11, s1
	s_and_b64 s[4:5], s[0:1], s[10:11]
	v_mov_b32_e32 v10, s0
	s_mul_u64 s[4:5], s[4:5], 24
	s_wait_loadcnt 0x0
	v_add_nc_u64_e32 v[6:7], s[4:5], v[4:5]
	global_store_b64 v[6:7], v[12:13], off
	global_wb scope:SCOPE_SYS
	s_wait_storecnt 0x0
	s_wait_xcnt 0x0
	global_atomic_cmpswap_b64 v[4:5], v8, v[10:13], s[2:3] offset:24 th:TH_ATOMIC_RETURN scope:SCOPE_SYS
	s_wait_loadcnt 0x0
	v_cmp_ne_u64_e32 vcc_lo, v[4:5], v[12:13]
	s_and_b32 exec_lo, exec_lo, vcc_lo
	s_cbranch_execz .LBB3_390
; %bb.388:
	s_mov_b32 s4, 0
.LBB3_389:                              ; =>This Inner Loop Header: Depth=1
	v_dual_mov_b32 v2, s0 :: v_dual_mov_b32 v3, s1
	s_sleep 1
	global_store_b64 v[6:7], v[4:5], off
	global_wb scope:SCOPE_SYS
	s_wait_storecnt 0x0
	s_wait_xcnt 0x0
	global_atomic_cmpswap_b64 v[2:3], v8, v[2:5], s[2:3] offset:24 th:TH_ATOMIC_RETURN scope:SCOPE_SYS
	s_wait_loadcnt 0x0
	v_cmp_eq_u64_e32 vcc_lo, v[2:3], v[4:5]
	v_mov_b64_e32 v[4:5], v[2:3]
	s_or_b32 s4, vcc_lo, s4
	s_delay_alu instid0(SALU_CYCLE_1)
	s_and_not1_b32 exec_lo, exec_lo, s4
	s_cbranch_execnz .LBB3_389
.LBB3_390:
	s_or_b32 exec_lo, exec_lo, s7
.LBB3_391:
	s_delay_alu instid0(SALU_CYCLE_1)
	s_or_b32 exec_lo, exec_lo, s6
	s_get_pc_i64 s[0:1]
	s_add_nc_u64 s[0:1], s[0:1], .str.4@rel64+4
	s_get_pc_i64 s[2:3]
	s_add_nc_u64 s[2:3], s[2:3], .str.4@rel64+32
	v_dual_mov_b32 v2, s0 :: v_dual_mov_b32 v3, s1
	s_sub_co_i32 s4, s2, s0
	v_mov_b32_e32 v6, 1
	s_ashr_i32 s5, s4, 31
	s_delay_alu instid0(SALU_CYCLE_1) | instskip(SKIP_2) | instid1(SALU_CYCLE_1)
	v_dual_mov_b32 v4, s4 :: v_dual_mov_b32 v5, s5
	s_get_pc_i64 s[2:3]
	s_add_nc_u64 s[2:3], s[2:3], __ockl_fprintf_append_string_n@rel64+4
	s_swap_pc_i64 s[30:31], s[2:3]
	s_trap 2
.Lfunc_end3:
	.size	__assert_fail, .Lfunc_end3-__assert_fail
                                        ; -- End function
	.set .L__assert_fail.num_vgpr, max(49, .L__ockl_fprintf_append_string_n.num_vgpr)
	.set .L__assert_fail.num_agpr, max(0, .L__ockl_fprintf_append_string_n.num_agpr)
	.set .L__assert_fail.numbered_sgpr, max(34, .L__ockl_fprintf_append_string_n.numbered_sgpr)
	.set .L__assert_fail.num_named_barrier, max(0, .L__ockl_fprintf_append_string_n.num_named_barrier)
	.set .L__assert_fail.private_seg_size, 64+max(.L__ockl_fprintf_append_string_n.private_seg_size)
	.set .L__assert_fail.uses_vcc, or(1, .L__ockl_fprintf_append_string_n.uses_vcc)
	.set .L__assert_fail.uses_flat_scratch, or(1, .L__ockl_fprintf_append_string_n.uses_flat_scratch)
	.set .L__assert_fail.has_dyn_sized_stack, or(0, .L__ockl_fprintf_append_string_n.has_dyn_sized_stack)
	.set .L__assert_fail.has_recursion, or(0, .L__ockl_fprintf_append_string_n.has_recursion)
	.set .L__assert_fail.has_indirect_call, or(0, .L__ockl_fprintf_append_string_n.has_indirect_call)
	.section	.AMDGPU.csdata,"",@progbits
; Function info:
; codeLenInByte = 15740
; TotalNumSgprs: 36
; NumVgprs: 49
; ScratchSize: 64
; MemoryBound: 0
	.text
	.p2align	2                               ; -- Begin function _ZN12_GLOBAL__N_17runRingIa7FuncSumIaE11ProtoSimpleILi2ELi2ELi0ELi1ELi0ELi0EELi0ELi1ELi0ELb0EEEviiP15ncclDevWorkColl
	.type	_ZN12_GLOBAL__N_17runRingIa7FuncSumIaE11ProtoSimpleILi2ELi2ELi0ELi1ELi0ELi0EELi0ELi1ELi0ELb0EEEviiP15ncclDevWorkColl,@function
_ZN12_GLOBAL__N_17runRingIa7FuncSumIaE11ProtoSimpleILi2ELi2ELi0ELi1ELi0ELi0EELi0ELi1ELi0ELb0EEEviiP15ncclDevWorkColl: ; @_ZN12_GLOBAL__N_17runRingIa7FuncSumIaE11ProtoSimpleILi2ELi2ELi0ELi1ELi0ELi0EELi0ELi1ELi0ELb0EEEviiP15ncclDevWorkColl
; %bb.0:
	s_wait_loadcnt_dscnt 0x0
	s_wait_kmcnt 0x0
	s_mov_b32 s59, s33
	s_mov_b32 s33, s32
	s_or_saveexec_b32 s0, -1
	scratch_store_b32 off, v92, s33 offset:112 ; 4-byte Folded Spill
	s_wait_xcnt 0x0
	s_mov_b32 exec_lo, s0
	s_addk_co_i32 s32, 0x80
	s_clause 0x1b
	scratch_store_b32 off, v40, s33 offset:108
	; meta instruction
	scratch_store_b32 off, v41, s33 offset:104
	; meta instruction
	;; [unrolled: 2-line block ×27, first 2 shown]
	scratch_store_b32 off, v91, s33
	v_writelane_b32 v92, s30, 0
	v_writelane_b32 v92, s31, 1
	s_trap 2
	s_clause 0x2
	flat_load_b32 v11, v[2:3]
	flat_load_b128 v[4:7], v[2:3] offset:72
	flat_load_b64 v[12:13], v[2:3] offset:88
	ds_load_b32 v9, v0
	ds_load_b64 v[18:19], v0
	s_mov_b32 s0, exec_lo
                                        ; implicit-def: $vgpr38_vgpr39
                                        ; implicit-def: $vgpr16_vgpr17
	s_wait_dscnt 0x1
	v_readfirstlane_b32 s18, v9
	s_wait_loadcnt 0x2
	v_bfe_u32 v10, v11, 8, 8
	v_bitop3_b32 v8, v11, 0xff, v11 bitop3:0x3f
	v_and_b32_e32 v11, 0xff, v11
	s_delay_alu instid0(VALU_DEP_2) | instskip(NEXT) | instid1(VALU_DEP_1)
	v_add_nc_u32_e32 v14, v10, v8
	v_ashrrev_i32_e32 v15, 31, v14
	s_wait_loadcnt 0x1
	s_delay_alu instid0(VALU_DEP_1)
	v_mul_u64_e32 v[14:15], v[6:7], v[14:15]
	s_wait_xcnt 0x0
	v_cmpx_ne_u32_e64 v9, v11
	s_xor_b32 s0, exec_lo, s0
	s_cbranch_execz .LBB4_6
; %bb.1:
	s_mov_b32 s1, exec_lo
                                        ; implicit-def: $vgpr38_vgpr39
                                        ; implicit-def: $vgpr16_vgpr17
	v_cmpx_ne_u32_e64 v9, v10
	s_xor_b32 s1, exec_lo, s1
	s_cbranch_execz .LBB4_3
; %bb.2:
	flat_load_b64 v[10:11], v[2:3] offset:96
	v_add_nc_u32_e32 v8, v9, v8
	s_delay_alu instid0(VALU_DEP_1) | instskip(NEXT) | instid1(VALU_DEP_1)
	v_mad_nc_u64_u32 v[16:17], v6, v8, v[4:5]
	v_mad_u32 v9, v7, v8, v17
	v_ashrrev_i32_e32 v8, 31, v8
	s_delay_alu instid0(VALU_DEP_1)
	v_mad_u32 v17, v6, v8, v9
	s_wait_loadcnt_dscnt 0x0
	v_lshrrev_b64 v[38:39], 21, v[10:11]
.LBB4_3:
	s_wait_xcnt 0x0
	s_and_not1_saveexec_b32 s1, s1
	s_cbranch_execz .LBB4_5
; %bb.4:
	flat_load_b32 v6, v[2:3] offset:100
	v_add_nc_u64_e32 v[16:17], v[14:15], v[4:5]
	s_wait_loadcnt_dscnt 0x0
	v_lshrrev_b32_e32 v38, 10, v6
	v_mov_b64_e32 v[6:7], v[12:13]
.LBB4_5:
	s_wait_xcnt 0x0
	s_or_b32 exec_lo, exec_lo, s1
.LBB4_6:
	s_and_not1_saveexec_b32 s0, s0
	s_cbranch_execz .LBB4_8
; %bb.7:
	flat_load_b64 v[38:39], v[2:3] offset:96
	v_mov_b64_e32 v[16:17], 0
	v_mov_b64_e32 v[6:7], v[4:5]
.LBB4_8:
	s_wait_xcnt 0x0
	s_or_b32 exec_lo, exec_lo, s0
	flat_load_b128 v[8:11], v[2:3] offset:16
	s_wait_loadcnt 0x1
	v_add_nc_u64_e32 v[4:5], v[12:13], v[4:5]
	s_mov_b32 s0, exec_lo
	s_delay_alu instid0(VALU_DEP_1)
	v_add_nc_u64_e32 v[20:21], v[4:5], v[14:15]
	s_wait_xcnt 0x0
	v_cmpx_ge_i32_e64 v0, v1
	s_xor_b32 s0, exec_lo, s0
	s_cbranch_execz .LBB4_33
; %bb.9:
	s_wait_dscnt 0x1
	flat_load_b32 v2, v[18:19]
	s_mov_b32 s1, exec_lo
	s_wait_loadcnt_dscnt 0x0
	v_ashrrev_i32_e32 v3, 31, v2
	s_delay_alu instid0(VALU_DEP_1) | instskip(NEXT) | instid1(VALU_DEP_1)
	v_mul_u64_e32 v[2:3], v[20:21], v[2:3]
	v_add_nc_u64_e32 v[4:5], v[8:9], v[2:3]
	s_wait_xcnt 0x0
	s_delay_alu instid0(VALU_DEP_1)
	v_cmpx_ne_u64_e64 v[10:11], v[4:5]
	s_cbranch_execz .LBB4_32
; %bb.10:
	v_sub_nc_u32_e32 v18, v0, v1
	v_add_nc_u64_e32 v[8:9], v[8:9], v[16:17]
	s_mov_b32 s2, 0
	s_mov_b32 s3, 0
	s_mov_b32 s4, exec_lo
	v_ashrrev_i16 v0, 15, v18
	s_delay_alu instid0(VALU_DEP_2) | instskip(NEXT) | instid1(VALU_DEP_2)
	v_add_nc_u64_e32 v[2:3], v[8:9], v[2:3]
	v_lshrrev_b16 v0, 11, v0
	s_delay_alu instid0(VALU_DEP_1) | instskip(NEXT) | instid1(VALU_DEP_1)
	v_add_nc_u16 v5, v18, v0
	v_and_b32_e32 v0, 0xffffffe0, v5
	s_delay_alu instid0(VALU_DEP_1) | instskip(SKIP_1) | instid1(VALU_DEP_2)
	v_sub_nc_u16 v4, v18, v0
	v_add_nc_u64_e32 v[0:1], v[10:11], v[16:17]
	v_cmpx_gt_i16_e32 1, v4
; %bb.11:
	s_delay_alu instid0(VALU_DEP_2) | instskip(NEXT) | instid1(VALU_DEP_1)
	v_bitop3_b32 v8, v0, 15, v2 bitop3:0xc8
	v_cmp_ne_u32_e32 vcc_lo, 0, v8
	s_and_b32 s3, vcc_lo, exec_lo
; %bb.12:
	s_or_b32 exec_lo, exec_lo, s4
	v_cndmask_b32_e64 v8, 0, 1, s3
	v_ashrrev_i16 v20, 5, v5
	s_delay_alu instid0(VALU_DEP_2)
	v_cmp_ne_u32_e32 vcc_lo, 0, v8
	s_cbranch_vccz .LBB4_14
; %bb.13:
	v_mov_b64_e32 v[8:9], 0
	s_mov_b32 s5, -1
	s_mov_b32 s4, 0
                                        ; implicit-def: $vgpr10_vgpr11
                                        ; implicit-def: $vgpr4_vgpr5
                                        ; implicit-def: $vgpr15
	s_and_saveexec_b32 s3, s5
	s_cbranch_execnz .LBB4_23
	s_branch .LBB4_26
.LBB4_14:
	v_dual_ashrrev_i32 v5, 31, v7 :: v_dual_mov_b32 v9, 0
	s_delay_alu instid0(VALU_DEP_3) | instskip(SKIP_2) | instid1(VALU_DEP_2)
	v_bfe_i32 v10, v20, 0, 16
	s_mov_b32 s5, 0
	s_mov_b32 s4, -1
	v_lshrrev_b32_e32 v8, 22, v5
                                        ; implicit-def: $vgpr18
	s_delay_alu instid0(VALU_DEP_2) | instskip(NEXT) | instid1(VALU_DEP_2)
	v_ashrrev_i32_e32 v11, 31, v10
	v_add_nc_u64_e32 v[8:9], v[6:7], v[8:9]
	s_delay_alu instid0(VALU_DEP_1) | instskip(SKIP_1) | instid1(VALU_DEP_2)
	v_ashrrev_i64 v[12:13], 10, v[8:9]
	v_mov_b64_e32 v[8:9], 0
	v_sub_nc_u64_e32 v[14:15], v[12:13], v[10:11]
                                        ; implicit-def: $vgpr10_vgpr11
	s_delay_alu instid0(VALU_DEP_1)
	v_cmp_gt_i64_e32 vcc_lo, 1, v[14:15]
	v_bfe_i32 v15, v4, 0, 16
                                        ; implicit-def: $vgpr4_vgpr5
	s_and_saveexec_b32 s3, vcc_lo
	s_cbranch_execz .LBB4_22
; %bb.15:
	v_lshlrev_b64_e32 v[4:5], 10, v[12:13]
	v_mov_b64_e32 v[8:9], 0
	s_mov_b32 s6, 0
	s_mov_b32 s2, exec_lo
                                        ; implicit-def: $vgpr10_vgpr11
                                        ; implicit-def: $vgpr12_vgpr13
                                        ; implicit-def: $vgpr18
	s_delay_alu instid0(VALU_DEP_2)
	v_cmpx_ne_u64_e64 v[6:7], v[4:5]
	s_cbranch_execz .LBB4_21
; %bb.16:
	v_sub_nc_u64_e32 v[18:19], v[6:7], v[4:5]
	s_mov_b32 s4, exec_lo
	s_delay_alu instid0(VALU_DEP_1) | instskip(NEXT) | instid1(VALU_DEP_1)
	v_dual_mov_b32 v11, 0 :: v_dual_ashrrev_i32 v7, 31, v19
	v_lshrrev_b32_e32 v10, 23, v7
	s_delay_alu instid0(VALU_DEP_1) | instskip(NEXT) | instid1(VALU_DEP_1)
	v_add_nc_u64_e32 v[8:9], v[18:19], v[10:11]
	v_ashrrev_i64 v[16:17], 9, v[8:9]
	v_and_b32_e32 v8, 0xfffffe00, v8
	s_delay_alu instid0(VALU_DEP_1) | instskip(SKIP_1) | instid1(VALU_DEP_2)
	v_sub_nc_u64_e32 v[12:13], v[18:19], v[8:9]
	v_add_nc_u64_e32 v[8:9], v[8:9], v[4:5]
	v_cmpx_lt_i64_e32 15, v[12:13]
; %bb.17:
	v_and_b32_e32 v10, 15, v6
	v_add_nc_u64_e32 v[16:17], 1, v[16:17]
	s_delay_alu instid0(VALU_DEP_2) | instskip(SKIP_1) | instid1(VALU_DEP_2)
	v_sub_nc_u64_e32 v[6:7], v[12:13], v[10:11]
	v_mov_b64_e32 v[12:13], v[10:11]
	v_add_nc_u64_e32 v[8:9], v[6:7], v[8:9]
; %bb.18:
	s_or_b32 exec_lo, exec_lo, s4
	v_lshlrev_b32_e32 v6, 5, v14
	s_mov_b32 s4, 0
	s_mov_b32 s5, -1
	s_delay_alu instid0(VALU_DEP_1) | instskip(NEXT) | instid1(VALU_DEP_1)
	v_sub_nc_u32_e32 v6, v15, v6
	v_ashrrev_i32_e32 v7, 31, v6
	s_delay_alu instid0(VALU_DEP_1) | instskip(NEXT) | instid1(VALU_DEP_1)
	v_lshrrev_b32_e32 v7, 27, v7
	v_add_nc_u32_e32 v7, v6, v7
	s_delay_alu instid0(VALU_DEP_1) | instskip(NEXT) | instid1(VALU_DEP_1)
	v_and_b32_e32 v10, 0xffffffe0, v7
	v_dual_ashrrev_i32 v7, 5, v7 :: v_dual_sub_nc_u32 v6, v6, v10
	s_delay_alu instid0(VALU_DEP_1) | instskip(NEXT) | instid1(VALU_DEP_1)
	v_lshlrev_b32_e32 v10, 4, v6
	v_lshl_add_u32 v10, v7, 9, v10
	s_delay_alu instid0(VALU_DEP_1) | instskip(NEXT) | instid1(VALU_DEP_1)
	v_ashrrev_i32_e32 v11, 31, v10
	v_sub_nc_u64_e32 v[18:19], v[18:19], v[10:11]
	s_delay_alu instid0(VALU_DEP_1)
	v_cmp_gt_i64_e32 vcc_lo, 16, v[18:19]
                                        ; implicit-def: $vgpr18
	s_and_saveexec_b32 s6, vcc_lo
; %bb.19:
	v_sub_nc_u32_e32 v7, v7, v16
	v_cmp_ne_u64_e32 vcc_lo, 0, v[12:13]
	s_xor_b32 s5, exec_lo, -1
	s_delay_alu instid0(VALU_DEP_2)
	v_lshl_add_u32 v18, v7, 5, v6
	s_and_b32 s4, vcc_lo, exec_lo
; %bb.20:
	s_or_b32 exec_lo, exec_lo, s6
	s_delay_alu instid0(SALU_CYCLE_1)
	s_and_b32 s6, s5, exec_lo
	s_and_b32 s5, s4, exec_lo
.LBB4_21:
	s_or_b32 exec_lo, exec_lo, s2
	v_mov_b64_e32 v[6:7], v[12:13]
	s_xor_b32 s4, exec_lo, -1
	s_and_b32 s2, s6, exec_lo
	s_and_b32 s5, s5, exec_lo
.LBB4_22:
	s_or_b32 exec_lo, exec_lo, s3
	s_and_saveexec_b32 s3, s5
	s_cbranch_execz .LBB4_26
.LBB4_23:
	v_dual_ashrrev_i32 v12, 31, v18 :: v_dual_ashrrev_i32 v13, 31, v7
	s_delay_alu instid0(VALU_DEP_1) | instskip(NEXT) | instid1(VALU_DEP_1)
	v_dual_lshrrev_b32 v14, 27, v12 :: v_dual_lshrrev_b32 v12, 24, v13
	v_dual_mov_b32 v13, 0 :: v_dual_add_nc_u32 v14, v18, v14
	s_delay_alu instid0(VALU_DEP_1) | instskip(NEXT) | instid1(VALU_DEP_2)
	v_add_nc_u64_e32 v[12:13], v[6:7], v[12:13]
	v_ashrrev_i32_e32 v6, 5, v14
	s_delay_alu instid0(VALU_DEP_2) | instskip(NEXT) | instid1(VALU_DEP_2)
	v_ashrrev_i64 v[12:13], 8, v[12:13]
	v_ashrrev_i32_e32 v7, 31, v6
	s_delay_alu instid0(VALU_DEP_1)
	v_cmp_gt_i64_e32 vcc_lo, v[12:13], v[6:7]
	s_and_b32 exec_lo, exec_lo, vcc_lo
	s_cbranch_execz .LBB4_26
; %bb.24:
	v_lshlrev_b32_e32 v7, 5, v6
	s_mov_b32 vcc_lo, exec_lo
	s_delay_alu instid0(VALU_DEP_1) | instskip(NEXT) | instid1(VALU_DEP_1)
	v_sub_nc_u32_e32 v7, v18, v7
	v_lshl_add_u32 v6, v6, 8, v7
	s_delay_alu instid0(VALU_DEP_1) | instskip(NEXT) | instid1(VALU_DEP_1)
	v_ashrrev_i32_e32 v7, 31, v6
	v_add_nc_u64_e32 v[8:9], v[8:9], v[6:7]
	s_delay_alu instid0(VALU_DEP_1)
	v_add_nc_u64_e32 v[6:7], v[8:9], v[2:3]
	v_add_nc_u64_e32 v[8:9], v[8:9], v[0:1]
.LBB4_25:                               ; =>This Inner Loop Header: Depth=1
	s_clause 0x7
	flat_load_u8 v12, v[8:9] th:TH_LOAD_NT
	flat_load_u8 v13, v[8:9] offset:32 th:TH_LOAD_NT
	flat_load_u8 v14, v[8:9] offset:64 th:TH_LOAD_NT
	;; [unrolled: 1-line block ×7, first 2 shown]
	s_wait_loadcnt_dscnt 0x707
	flat_store_b8 v[6:7], v12 th:TH_STORE_NT
	s_wait_loadcnt_dscnt 0x607
	flat_store_b8 v[6:7], v13 offset:32 th:TH_STORE_NT
	s_wait_loadcnt_dscnt 0x507
	flat_store_b8 v[6:7], v14 offset:64 th:TH_STORE_NT
	s_wait_loadcnt_dscnt 0x407
	flat_store_b8 v[6:7], v16 offset:96 th:TH_STORE_NT
	s_wait_loadcnt_dscnt 0x307
	flat_store_b8 v[6:7], v17 offset:128 th:TH_STORE_NT
	s_wait_loadcnt_dscnt 0x207
	flat_store_b8 v[6:7], v18 offset:160 th:TH_STORE_NT
	s_wait_loadcnt_dscnt 0x107
	flat_store_b8 v[6:7], v19 offset:192 th:TH_STORE_NT
	s_wait_loadcnt_dscnt 0x7
	flat_store_b8 v[6:7], v21 offset:224 th:TH_STORE_NT
	s_cbranch_vccnz .LBB4_25
.LBB4_26:
	s_wait_xcnt 0x0
	s_or_b32 exec_lo, exec_lo, s3
	s_and_saveexec_b32 s3, s2
	s_cbranch_execz .LBB4_29
; %bb.27:
	v_add_nc_u64_e32 v[6:7], v[4:5], v[10:11]
	s_mov_b32 vcc_lo, 0
	s_delay_alu instid0(VALU_DEP_1)
	v_add_nc_u64_e32 v[4:5], v[6:7], v[2:3]
	v_add_nc_u64_e32 v[6:7], v[6:7], v[0:1]
.LBB4_28:                               ; =>This Inner Loop Header: Depth=1
	global_load_b128 v[8:11], v[6:7], off th:TH_LOAD_NT
	s_wait_loadcnt 0x0
	global_store_b128 v[4:5], v[8:11], off th:TH_STORE_NT
	s_cbranch_vccz .LBB4_28
.LBB4_29:
	s_wait_xcnt 0x0
	s_or_b32 exec_lo, exec_lo, s3
	s_and_saveexec_b32 s2, s4
	s_delay_alu instid0(SALU_CYCLE_1)
	s_xor_b32 s2, exec_lo, s2
	s_cbranch_execz .LBB4_32
; %bb.30:
	v_bfe_i32 v4, v20, 0, 16
	v_lshlrev_b32_e32 v5, 4, v15
	s_mov_b32 vcc_lo, 0
	s_delay_alu instid0(VALU_DEP_1) | instskip(NEXT) | instid1(VALU_DEP_1)
	v_lshl_add_u32 v4, v4, 10, v5
	v_ashrrev_i32_e32 v5, 31, v4
	s_delay_alu instid0(VALU_DEP_1)
	v_add_nc_u64_e32 v[2:3], v[2:3], v[4:5]
	v_add_nc_u64_e32 v[0:1], v[0:1], v[4:5]
.LBB4_31:                               ; =>This Inner Loop Header: Depth=1
	s_clause 0x1
	global_load_b128 v[4:7], v[0:1], off th:TH_LOAD_NT
	global_load_b128 v[8:11], v[0:1], off offset:512 th:TH_LOAD_NT
	s_wait_loadcnt 0x1
	global_store_b128 v[2:3], v[4:7], off th:TH_STORE_NT
	s_wait_loadcnt 0x0
	global_store_b128 v[2:3], v[8:11], off offset:512 th:TH_STORE_NT
	s_cbranch_vccz .LBB4_31
.LBB4_32:
	s_wait_xcnt 0x0
	s_or_b32 exec_lo, exec_lo, s1
                                        ; implicit-def: $vgpr6_vgpr7
                                        ; implicit-def: $vgpr16_vgpr17
                                        ; implicit-def: $vgpr38_vgpr39
                                        ; implicit-def: $vgpr20_vgpr21
                                        ; implicit-def: $vgpr0
                                        ; implicit-def: $vgpr1
                                        ; implicit-def: $vgpr18_vgpr19
                                        ; implicit-def: $vgpr31
                                        ; implicit-def: $vgpr10_vgpr11
                                        ; implicit-def: $vgpr2_vgpr3
.LBB4_33:
	s_and_not1_saveexec_b32 s21, s0
	s_cbranch_execz .LBB4_1052
; %bb.34:
	s_trap 2
	ds_load_b64 v[4:5], v0
	s_mov_b32 s1, 0
	s_mov_b32 s2, exec_lo
	s_wait_dscnt 0x0
	v_cmp_ne_u32_e32 vcc_lo, -1, v4
	v_cndmask_b32_e64 v48, 0, 1, vcc_lo
	v_cmp_ne_u32_e32 vcc_lo, -1, v5
	s_delay_alu instid0(VALU_DEP_2) | instskip(NEXT) | instid1(VALU_DEP_1)
	v_add_co_ci_u32_e64 v14, null, 0, v48, vcc_lo
	v_lshlrev_b32_e32 v4, 1, v14
	s_delay_alu instid0(VALU_DEP_1)
	v_cmpx_le_u32_e64 v4, v1
	s_xor_b32 s19, exec_lo, s2
	s_cbranch_execz .LBB4_1049
; %bb.35:
	s_clause 0x2
	flat_load_b64 v[4:5], v[2:3] offset:104
	flat_load_u16 v13, v[2:3] offset:8
	flat_load_b32 v12, v[2:3] offset:4
	s_trap 2
	s_load_b32 s0, s[8:9], 0x0
	s_bfe_u32 s2, ttmp6, 0x4000c
	s_and_b32 s3, ttmp6, 15
	s_add_co_i32 s2, s2, 1
	s_getreg_b32 s4, hwreg(HW_REG_IB_STS2, 6, 4)
	s_mul_i32 s2, ttmp9, s2
	v_dual_mov_b32 v15, 0 :: v_dual_mov_b32 v30, 4
	s_add_co_i32 s3, s3, s2
	s_cmp_eq_u32 s4, 0
	s_cselect_b32 s2, ttmp9, s3
	s_wait_kmcnt 0x0
	s_cmp_lt_u32 s2, s0
	s_cselect_b32 s0, 12, 18
	s_delay_alu instid0(SALU_CYCLE_1)
	s_add_nc_u64 s[0:1], s[8:9], s[0:1]
	global_load_u16 v29, v15, s[0:1]
	s_wait_xcnt 0x0
	ds_load_b32 v15, v0
	s_mov_b32 s1, exec_lo
	s_wait_dscnt 0x0
	v_readfirstlane_b32 s5, v15
	v_cmpx_ge_i32_e64 v0, v48
	s_cbranch_execz .LBB4_45
; %bb.36:
	v_cmp_ge_u32_e64 s0, v0, v14
                                        ; implicit-def: $vgpr30
	s_and_saveexec_b32 s2, s0
	s_delay_alu instid0(SALU_CYCLE_1)
	s_xor_b32 s0, exec_lo, s2
	s_cbranch_execz .LBB4_42
; %bb.37:
	v_cndmask_b32_e64 v15, 0, 1, vcc_lo
	s_mov_b32 s2, exec_lo
	s_delay_alu instid0(VALU_DEP_1) | instskip(NEXT) | instid1(VALU_DEP_1)
	v_sub_nc_u32_e32 v15, v1, v15
	v_cmpx_ge_u32_e64 v0, v15
	s_xor_b32 s2, exec_lo, s2
; %bb.38:
                                        ; implicit-def: $vgpr14
; %bb.39:
	s_delay_alu instid0(SALU_CYCLE_1)
	s_or_saveexec_b32 s2, s2
	v_mov_b32_e32 v30, 16
	s_xor_b32 exec_lo, exec_lo, s2
; %bb.40:
	v_sub_nc_u32_e32 v14, v1, v14
	s_delay_alu instid0(VALU_DEP_1)
	v_cmp_lt_i32_e32 vcc_lo, v0, v14
	v_cndmask_b32_e64 v30, 32, 0, vcc_lo
; %bb.41:
	s_or_b32 exec_lo, exec_lo, s2
.LBB4_42:
	s_and_not1_saveexec_b32 s0, s0
; %bb.43:
	v_mov_b32_e32 v30, 8
; %bb.44:
	s_or_b32 exec_lo, exec_lo, s0
.LBB4_45:
	s_delay_alu instid0(SALU_CYCLE_1) | instskip(NEXT) | instid1(VALU_DEP_1)
	s_or_b32 exec_lo, exec_lo, s1
	v_dual_mov_b32 v39, -1 :: v_dual_bitop2_b32 v14, 36, v30 bitop3:0x40
	s_delay_alu instid0(VALU_DEP_1)
	v_cmp_ne_u32_e32 vcc_lo, 0, v14
	s_and_saveexec_b32 s0, vcc_lo
	s_cbranch_execz .LBB4_47
; %bb.46:
	s_trap 2
	ds_load_b32 v39, v0
.LBB4_47:
	s_or_b32 exec_lo, exec_lo, s0
	v_and_b32_e32 v14, 24, v30
	s_mov_b32 s1, exec_lo
	s_delay_alu instid0(VALU_DEP_1)
	v_cmpx_ne_u32_e32 0, v14
	s_cbranch_execz .LBB4_49
; %bb.48:
	s_trap 2
	s_wait_dscnt 0x0
	ds_load_b32 v39, v0
.LBB4_49:
	s_or_b32 exec_lo, exec_lo, s1
	s_wait_loadcnt 0x1
	v_lshrrev_b64 v[12:13], 31, v[12:13]
	v_mov_b64_e32 v[24:25], 0
                                        ; implicit-def: $vgpr22_vgpr23
                                        ; implicit-def: $vgpr28
                                        ; implicit-def: $vgpr98_vgpr99
                                        ; implicit-def: $vgpr32_vgpr33
                                        ; implicit-def: $vgpr36_vgpr37
                                        ; implicit-def: $vgpr26_vgpr27
	s_delay_alu instid0(VALU_DEP_2) | instskip(SKIP_1) | instid1(VALU_DEP_2)
	v_and_b32_e32 v14, 3, v12
	v_mov_b64_e32 v[12:13], 0
	v_and_b32_e32 v49, 0xffff, v14
	s_and_saveexec_b32 s0, vcc_lo
	s_cbranch_execz .LBB4_59
; %bb.50:
	s_trap 2
	ds_load_b64 v[12:13], v0
	s_mov_b32 s1, exec_lo
                                        ; implicit-def: $vgpr22_vgpr23
	s_wait_dscnt 0x0
	v_readfirstlane_b32 s2, v12
	v_readfirstlane_b32 s3, v13
	flat_load_b64 v[12:13], v39, s[2:3] scale_offset
	s_wait_loadcnt_dscnt 0x0
	v_mad_nc_u64_u32 v[14:15], 0xa8, v49, v[12:13]
	flat_load_b32 v12, v[14:15] offset:640
	s_wait_loadcnt_dscnt 0x0
	v_cmpx_eq_u32_e32 1, v12
	s_cbranch_execz .LBB4_52
; %bb.51:
	flat_load_b64 v[22:23], v[14:15] offset:648
	v_or_b32_e32 v30, 0x2000, v30
	s_wait_loadcnt_dscnt 0x0
	flat_load_b64 v[12:13], v[22:23]
	s_trap 2
	s_wait_loadcnt_dscnt 0x0
	ds_store_b64 v0, v[12:13]
	flat_load_b64 v[12:13], v[22:23] offset:8
	s_wait_loadcnt_dscnt 0x0
	ds_store_b64 v0, v[12:13]
	flat_load_b64 v[12:13], v[22:23] offset:16
	s_wait_loadcnt_dscnt 0x0
	ds_store_b64 v0, v[12:13]
.LBB4_52:
	s_wait_xcnt 0x0
	s_or_b32 exec_lo, exec_lo, s1
	flat_load_b64 v[12:13], v[14:15] offset:608
	s_mov_b32 s1, exec_lo
                                        ; implicit-def: $vgpr26_vgpr27
	s_wait_loadcnt_dscnt 0x0
	v_add_nc_u64_e32 v[98:99], 3, v[12:13]
	v_and_b32_e32 v12, 32, v30
	s_delay_alu instid0(VALU_DEP_2) | instskip(SKIP_1) | instid1(VALU_DEP_2)
	v_and_b32_e32 v98, -4, v98
	s_wait_xcnt 0x0
	v_cmpx_ne_u32_e32 0, v12
	s_cbranch_execz .LBB4_54
; %bb.53:
	flat_load_b64 v[26:27], v[14:15] offset:560
	global_wb scope:SCOPE_SYS
	s_wait_storecnt 0x0
	s_wait_xcnt 0x0
	s_wait_loadcnt_dscnt 0x0
	flat_store_b64 v[26:27], v[98:99] scope:SCOPE_SYS
.LBB4_54:
	s_wait_xcnt 0x0
	s_or_b32 exec_lo, exec_lo, s1
	v_and_b32_e32 v28, 4, v30
	v_add_nc_u64_e32 v[24:25], 0x1f8, v[14:15]
	v_mov_b64_e32 v[12:13], 0
                                        ; implicit-def: $vgpr32_vgpr33
                                        ; implicit-def: $vgpr36_vgpr37
	s_delay_alu instid0(VALU_DEP_3)
	v_cmp_ne_u32_e32 vcc_lo, 0, v28
                                        ; implicit-def: $vgpr28
	s_and_saveexec_b32 s1, vcc_lo
	s_cbranch_execz .LBB4_58
; %bb.55:
	v_and_b32_e32 v12, 0x800, v30
	s_mov_b32 s2, exec_lo
	s_delay_alu instid0(VALU_DEP_1)
	v_cmpx_eq_u32_e32 0, v12
	s_cbranch_execz .LBB4_57
; %bb.56:
	s_trap 2
	ds_store_b64 v0, v[24:25]
.LBB4_57:
	s_or_b32 exec_lo, exec_lo, s2
	flat_load_b64 v[26:27], v[14:15] offset:552
	s_wait_loadcnt_dscnt 0x0
	flat_load_b64 v[36:37], v[26:27] scope:SCOPE_SYS
	s_clause 0x2
	flat_load_b64 v[12:13], v[14:15] offset:600
	flat_load_b32 v28, v[14:15] offset:576
	flat_load_b64 v[32:33], v[14:15] offset:520
	s_wait_xcnt 0x0
	v_or_b32_e32 v14, 0x100, v30
	s_wait_loadcnt_dscnt 0x202
	v_cmp_eq_u64_e32 vcc_lo, 0, v[12:13]
	s_delay_alu instid0(VALU_DEP_2)
	v_cndmask_b32_e32 v30, v14, v30, vcc_lo
.LBB4_58:
	s_or_b32 exec_lo, exec_lo, s1
.LBB4_59:
	s_delay_alu instid0(SALU_CYCLE_1) | instskip(NEXT) | instid1(VALU_DEP_1)
	s_or_b32 exec_lo, exec_lo, s0
	v_and_b32_e32 v14, 24, v30
	s_mov_b32 s0, exec_lo
                                        ; implicit-def: $vgpr34_vgpr35
	s_delay_alu instid0(VALU_DEP_1)
	v_cmpx_ne_u32_e32 0, v14
	s_cbranch_execz .LBB4_67
; %bb.60:
	s_trap 2
	ds_load_b64 v[12:13], v0
	v_or_b32_e32 v34, 0x100, v30
	s_wait_dscnt 0x0
	v_readfirstlane_b32 s2, v12
	v_readfirstlane_b32 s3, v13
	flat_load_b64 v[12:13], v39, s[2:3] scale_offset
	s_wait_loadcnt_dscnt 0x0
	v_mad_nc_u64_u32 v[24:25], 0xa8, v49, v[12:13]
	flat_load_b128 v[12:15], v[24:25] offset:96
	s_wait_loadcnt_dscnt 0x0
	v_cmp_eq_u64_e32 vcc_lo, 0, v[12:13]
	v_cndmask_b32_e32 v30, v34, v30, vcc_lo
	s_delay_alu instid0(VALU_DEP_1) | instskip(NEXT) | instid1(VALU_DEP_1)
	v_and_b32_e32 v34, 16, v30
	v_cmp_ne_u32_e32 vcc_lo, 0, v34
                                        ; implicit-def: $vgpr34_vgpr35
	s_wait_xcnt 0x0
	s_and_saveexec_b32 s1, vcc_lo
	s_cbranch_execz .LBB4_62
; %bb.61:
	s_clause 0x2
	flat_load_b64 v[26:27], v[24:25] offset:48
	flat_load_b64 v[34:35], v[24:25] offset:120
	;; [unrolled: 1-line block ×3, first 2 shown]
.LBB4_62:
	s_wait_xcnt 0x0
	s_or_b32 exec_lo, exec_lo, s1
	v_add_nc_u64_e32 v[98:99], 3, v[14:15]
	v_and_b32_e32 v14, 8, v30
	s_mov_b32 s1, exec_lo
	s_delay_alu instid0(VALU_DEP_2) | instskip(NEXT) | instid1(VALU_DEP_2)
	v_and_b32_e32 v98, -4, v98
	v_cmpx_ne_u32_e32 0, v14
	s_cbranch_execz .LBB4_66
; %bb.63:
	v_and_b32_e32 v14, 0x800, v30
	s_mov_b32 s2, exec_lo
	s_delay_alu instid0(VALU_DEP_1)
	v_cmpx_eq_u32_e32 0, v14
	s_cbranch_execz .LBB4_65
; %bb.64:
	s_trap 2
	ds_store_b64 v0, v[24:25]
.LBB4_65:
	s_or_b32 exec_lo, exec_lo, s2
	s_wait_loadcnt_dscnt 0x202
	flat_load_b64 v[26:27], v[24:25] offset:56
	s_wait_loadcnt_dscnt 0x0
	flat_load_b64 v[36:37], v[26:27] scope:SCOPE_SYS
	s_clause 0x1
	flat_load_b32 v28, v[24:25] offset:72
	flat_load_b64 v[32:33], v[24:25] offset:16
.LBB4_66:
	s_wait_xcnt 0x0
	s_or_b32 exec_lo, exec_lo, s1
.LBB4_67:
	s_delay_alu instid0(SALU_CYCLE_1)
	s_or_b32 exec_lo, exec_lo, s0
	v_cmp_eq_u32_e64 s0, 0, v0
	s_and_saveexec_b32 s1, s0
	s_cbranch_execz .LBB4_69
; %bb.68:
	flat_load_b64 v[14:15], v[2:3] offset:32
	v_dual_mov_b32 v50, v10 :: v_dual_mov_b32 v51, v11
	v_dual_mov_b32 v52, v8 :: v_dual_mov_b32 v53, v9
	ds_store_2addr_b64 v0, v[50:51], v[52:53] offset1:1
	s_trap 2
	s_wait_loadcnt_dscnt 0x1
	ds_store_b64 v0, v[14:15]
	ds_store_b64 v0, v[4:5]
.LBB4_69:
	s_wait_xcnt 0x0
	s_or_b32 exec_lo, exec_lo, s1
	v_mov_b64_e32 v[14:15], 0
	s_wait_loadcnt 0x0
	v_and_b32_e32 v56, 0xffff, v29
	s_mov_b32 s20, exec_lo
	v_cmpx_ne_u64_e32 0, v[6:7]
	s_cbranch_execz .LBB4_1015
; %bb.70:
	flat_load_b32 v86, v[2:3] offset:4
	s_wait_xcnt 0x0
	v_cvt_f64_u32_e32 v[2:3], 0
	v_dual_mov_b32 v49, 0 :: v_dual_lshlrev_b32 v4, 9, v38
	s_ashr_i32 s6, s5, 31
	s_wait_dscnt 0x2
	v_dual_ashrrev_i32 v29, 31, v28 :: v_dual_lshrrev_b32 v50, 5, v1
	s_delay_alu instid0(VALU_DEP_2)
	v_and_b32_e32 v38, 0x3ffffe00, v4
	s_lshr_b32 s6, s6, 25
	v_and_b32_e32 v57, 0x1fe0, v1
	s_add_co_i32 s6, s5, s6
	v_dual_lshlrev_b32 v60, 9, v50 :: v_dual_lshlrev_b32 v68, 8, v50
	v_cvt_f64_u32_e32 v[4:5], v38
	s_delay_alu instid0(VALU_DEP_3) | instskip(NEXT) | instid1(VALU_DEP_3)
	v_subrev_nc_u32_e32 v70, 32, v57
	v_dual_mov_b32 v81, v49 :: v_dual_add_nc_u32 v82, 0xfffffe00, v60
	v_cmp_eq_u32_e32 vcc_lo, 32, v1
	v_mov_b64_e32 v[54:55], 0
	v_cmp_eq_u64_e64 s3, 0, v[34:35]
	v_cmp_ne_u64_e64 s4, 0, v[34:35]
	v_mov_b64_e32 v[64:65], 0
	v_mov_b64_e32 v[14:15], 0
	v_cmp_ne_u32_e64 s1, 32, v1
	v_cmp_ne_u32_e64 s2, v1, v56
	v_dual_mov_b32 v58, 1 :: v_dual_mov_b32 v59, 0x88
	s_wait_dscnt 0x1
	v_dual_mov_b32 v39, v49 :: v_dual_mov_b32 v51, v49
	s_ashr_i32 s23, s6, 7
	s_cmp_gt_i32 s18, 2
	s_mov_b32 s22, 0
	s_cselect_b32 s24, -1, 0
	v_ldexp_f64 v[2:3], v[2:3], 32
	s_add_co_i32 s25, s18, -2
	s_xor_b32 s27, vcc_lo, -1
	s_trap 2
	v_dual_mov_b32 v69, v49 :: v_dual_lshlrev_b32 v52, 4, v0
	s_delay_alu instid0(VALU_DEP_1) | instskip(NEXT) | instid1(VALU_DEP_3)
	v_ashrrev_i32_e32 v53, 31, v52
	v_dual_add_f64 v[2:3], v[2:3], v[4:5] :: v_dual_bitop2_b32 v4, 31, v31 bitop3:0x40
	v_ashrrev_i32_e32 v5, 31, v0
	s_delay_alu instid0(VALU_DEP_2) | instskip(NEXT) | instid1(VALU_DEP_2)
	v_cmp_eq_u32_e64 s5, 0, v4
	v_dual_lshrrev_b32 v4, 27, v5 :: v_dual_lshlrev_b32 v80, 10, v50
	s_delay_alu instid0(VALU_DEP_1) | instskip(NEXT) | instid1(VALU_DEP_1)
	v_dual_max_num_f64 v[66:67], v[2:3], v[2:3] :: v_dual_add_nc_u32 v2, v0, v4
	v_and_b32_e32 v3, 0xffffffe0, v2
	s_delay_alu instid0(VALU_DEP_1) | instskip(NEXT) | instid1(VALU_DEP_1)
	v_dual_ashrrev_i32 v61, 5, v2 :: v_dual_sub_nc_u32 v62, v0, v3
	v_dual_ashrrev_i32 v71, 31, v70 :: v_dual_lshlrev_b32 v2, 10, v61
	v_dual_ashrrev_i32 v83, 31, v82 :: v_dual_sub_nc_u32 v63, 0, v61
	s_delay_alu instid0(VALU_DEP_3) | instskip(NEXT) | instid1(VALU_DEP_3)
	v_cmp_gt_i32_e64 s6, 1, v62
	v_add_nc_u64_e32 v[84:85], 32, v[70:71]
	s_delay_alu instid0(VALU_DEP_4) | instskip(SKIP_3) | instid1(VALU_DEP_3)
	v_lshl_add_u32 v96, v62, 4, v2
	v_cmp_le_i32_e64 s10, v62, v48
	v_cmp_lt_i32_e64 s11, v62, v48
	s_wait_loadcnt_dscnt 0x0
	v_dual_ashrrev_i32 v97, 31, v96 :: v_dual_bitop2_b32 v3, 1, v86 bitop3:0x40
	v_add_nc_u64_e32 v[86:87], 0x200, v[82:83]
	s_delay_alu instid0(VALU_DEP_2)
	v_cmp_eq_u32_e64 s7, 1, v3
	s_xor_b32 s26, s7, -1
	s_branch .LBB4_73
.LBB4_71:                               ;   in Loop: Header=BB4_73 Depth=1
	s_or_b32 exec_lo, exec_lo, s14
.LBB4_72:                               ;   in Loop: Header=BB4_73 Depth=1
	s_delay_alu instid0(SALU_CYCLE_1) | instskip(SKIP_1) | instid1(VALU_DEP_1)
	s_or_b32 exec_lo, exec_lo, s13
	v_add_nc_u64_e32 v[64:65], v[64:65], v[38:39]
	v_cmp_ge_u64_e32 vcc_lo, v[64:65], v[6:7]
	s_or_b32 s22, vcc_lo, s22
	s_delay_alu instid0(SALU_CYCLE_1)
	s_and_not1_b32 exec_lo, exec_lo, s22
	s_cbranch_execz .LBB4_1014
.LBB4_73:                               ; =>This Loop Header: Depth=1
                                        ;     Child Loop BB4_78 Depth 2
                                        ;       Child Loop BB4_86 Depth 3
                                        ;       Child Loop BB4_110 Depth 3
	;; [unrolled: 1-line block ×4, first 2 shown]
                                        ;         Child Loop BB4_157 Depth 4
                                        ;       Child Loop BB4_163 Depth 3
                                        ;         Child Loop BB4_164 Depth 4
                                        ;       Child Loop BB4_173 Depth 3
                                        ;       Child Loop BB4_178 Depth 3
                                        ;         Child Loop BB4_179 Depth 4
                                        ;       Child Loop BB4_191 Depth 3
                                        ;       Child Loop BB4_196 Depth 3
	;; [unrolled: 1-line block ×6, first 2 shown]
                                        ;     Child Loop BB4_399 Depth 2
                                        ;       Child Loop BB4_405 Depth 3
                                        ;       Child Loop BB4_429 Depth 3
	;; [unrolled: 1-line block ×3, first 2 shown]
                                        ;     Child Loop BB4_257 Depth 2
                                        ;       Child Loop BB4_265 Depth 3
                                        ;       Child Loop BB4_289 Depth 3
	;; [unrolled: 1-line block ×9, first 2 shown]
                                        ;     Child Loop BB4_471 Depth 2
                                        ;       Child Loop BB4_477 Depth 3
                                        ;       Child Loop BB4_501 Depth 3
	;; [unrolled: 1-line block ×3, first 2 shown]
                                        ;     Child Loop BB4_544 Depth 2
                                        ;       Child Loop BB4_547 Depth 3
                                        ;         Child Loop BB4_555 Depth 4
                                        ;         Child Loop BB4_583 Depth 4
	;; [unrolled: 1-line block ×4, first 2 shown]
                                        ;           Child Loop BB4_626 Depth 5
                                        ;         Child Loop BB4_632 Depth 4
                                        ;           Child Loop BB4_633 Depth 5
                                        ;         Child Loop BB4_642 Depth 4
                                        ;         Child Loop BB4_647 Depth 4
                                        ;           Child Loop BB4_648 Depth 5
                                        ;         Child Loop BB4_660 Depth 4
                                        ;         Child Loop BB4_665 Depth 4
	;; [unrolled: 1-line block ×6, first 2 shown]
                                        ;       Child Loop BB4_730 Depth 3
                                        ;         Child Loop BB4_736 Depth 4
                                        ;         Child Loop BB4_764 Depth 4
	;; [unrolled: 1-line block ×3, first 2 shown]
                                        ;     Child Loop BB4_808 Depth 2
                                        ;       Child Loop BB4_816 Depth 3
                                        ;       Child Loop BB4_840 Depth 3
	;; [unrolled: 1-line block ×9, first 2 shown]
                                        ;     Child Loop BB4_948 Depth 2
                                        ;       Child Loop BB4_954 Depth 3
                                        ;       Child Loop BB4_978 Depth 3
	;; [unrolled: 1-line block ×3, first 2 shown]
	v_sub_nc_u64_e32 v[2:3], v[6:7], v[64:65]
	v_add_nc_u64_e32 v[100:101], v[64:65], v[16:17]
	s_delay_alu instid0(VALU_DEP_2) | instskip(NEXT) | instid1(VALU_DEP_3)
	v_cvt_f64_u32_e32 v[4:5], v3
	v_cvt_f64_u32_e32 v[2:3], v2
	s_delay_alu instid0(VALU_DEP_2) | instskip(NEXT) | instid1(VALU_DEP_1)
	v_ldexp_f64 v[4:5], v[4:5], 32
	v_add_f64_e32 v[2:3], v[4:5], v[2:3]
	s_delay_alu instid0(VALU_DEP_1) | instskip(NEXT) | instid1(VALU_DEP_1)
	v_min_num_f64_e32 v[2:3], v[66:67], v[2:3]
	v_cvt_i32_f64_e32 v48, v[2:3]
	flat_load_b32 v2, v[18:19]
	v_max_i32_e32 v72, 0, v48
	v_cmp_lt_i32_e64 s12, 0, v48
	s_wait_loadcnt_dscnt 0x0
	v_mad_nc_u64_u32 v[114:115], v20, v2, v[100:101]
	v_ashrrev_i32_e32 v3, 31, v2
	s_delay_alu instid0(VALU_DEP_2) | instskip(NEXT) | instid1(VALU_DEP_1)
	v_mad_u32 v2, v21, v2, v115
	v_mad_u32 v115, v20, v3, v2
	v_add_nc_u64_e32 v[2:3], v[10:11], v[100:101]
	s_delay_alu instid0(VALU_DEP_2) | instskip(NEXT) | instid1(VALU_DEP_1)
	v_add_nc_u64_e32 v[4:5], v[8:9], v[114:115]
	v_cmp_ne_u64_e32 vcc_lo, v[2:3], v[4:5]
	v_add_nc_u32_e32 v2, 31, v72
	s_delay_alu instid0(VALU_DEP_1) | instskip(NEXT) | instid1(VALU_DEP_1)
	v_ashrrev_i32_e32 v3, 31, v2
	v_lshrrev_b32_e32 v3, 27, v3
	s_delay_alu instid0(VALU_DEP_1) | instskip(NEXT) | instid1(VALU_DEP_1)
	v_add_nc_u32_e32 v2, v2, v3
	v_ashrrev_i32_e32 v2, 5, v2
	s_delay_alu instid0(VALU_DEP_1) | instskip(NEXT) | instid1(VALU_DEP_1)
	v_lshlrev_b32_e32 v2, 4, v2
	v_max_i32_e32 v73, s23, v2
	s_wait_xcnt 0x0
	s_and_saveexec_b32 s13, vcc_lo
	s_delay_alu instid0(SALU_CYCLE_1)
	s_xor_b32 s28, exec_lo, s13
	s_cbranch_execz .LBB4_252
; %bb.74:                               ;   in Loop: Header=BB4_73 Depth=1
	v_dual_mov_b32 v2, 0 :: v_dual_mov_b32 v112, v73
	v_mov_b32_e32 v102, 0
	s_and_saveexec_b32 s29, s12
	s_cbranch_execz .LBB4_395
; %bb.75:                               ;   in Loop: Header=BB4_73 Depth=1
	v_dual_mov_b32 v102, 0 :: v_dual_mov_b32 v112, v73
	s_mov_b32 s42, 1
	s_mov_b32 s41, -1
	s_mov_b32 s40, 0
	s_branch .LBB4_78
.LBB4_76:                               ;   in Loop: Header=BB4_78 Depth=2
	s_wait_xcnt 0x0
	s_or_b32 exec_lo, exec_lo, s14
	v_add_nc_u64_e32 v[98:99], 2, v[98:99]
	global_wb scope:SCOPE_SYS
	s_wait_storecnt 0x0
	s_wait_loadcnt_dscnt 0x0
	flat_store_b64 v[26:27], v[98:99] scope:SCOPE_SYS
.LBB4_77:                               ;   in Loop: Header=BB4_78 Depth=2
	s_wait_xcnt 0x0
	s_or_b32 exec_lo, exec_lo, s13
	v_dual_add_nc_u32 v102, v112, v102 :: v_dual_mov_b32 v2, s42
	s_xor_b32 s13, s41, -1
	s_mov_b32 s41, 0
	s_mov_b32 s42, 2
	s_delay_alu instid0(VALU_DEP_1) | instskip(SKIP_1) | instid1(SALU_CYCLE_1)
	v_cmp_ge_i32_e32 vcc_lo, v102, v72
	s_or_b32 s13, s13, vcc_lo
	s_and_b32 s13, exec_lo, s13
	s_delay_alu instid0(SALU_CYCLE_1) | instskip(NEXT) | instid1(SALU_CYCLE_1)
	s_or_b32 s40, s13, s40
	s_and_not1_b32 exec_lo, exec_lo, s40
	s_cbranch_execz .LBB4_394
.LBB4_78:                               ;   Parent Loop BB4_73 Depth=1
                                        ; =>  This Loop Header: Depth=2
                                        ;       Child Loop BB4_86 Depth 3
                                        ;       Child Loop BB4_110 Depth 3
	;; [unrolled: 1-line block ×4, first 2 shown]
                                        ;         Child Loop BB4_157 Depth 4
                                        ;       Child Loop BB4_163 Depth 3
                                        ;         Child Loop BB4_164 Depth 4
                                        ;       Child Loop BB4_173 Depth 3
                                        ;       Child Loop BB4_178 Depth 3
                                        ;         Child Loop BB4_179 Depth 4
                                        ;       Child Loop BB4_191 Depth 3
                                        ;       Child Loop BB4_196 Depth 3
                                        ;       Child Loop BB4_204 Depth 3
                                        ;       Child Loop BB4_209 Depth 3
                                        ;       Child Loop BB4_219 Depth 3
                                        ;       Child Loop BB4_238 Depth 3
	s_and_saveexec_b32 s13, s0
	s_cbranch_execz .LBB4_80
; %bb.79:                               ;   in Loop: Header=BB4_78 Depth=2
	s_trap 2
	ds_load_b64 v[116:117], v0
	ds_load_2addr_b64 v[2:5], v0 offset1:1
	s_wait_dscnt 0x1
	v_add_nc_u64_e32 v[118:119], v[116:117], v[114:115]
	v_cmp_ne_u64_e32 vcc_lo, 0, v[116:117]
	v_ashrrev_i32_e32 v103, 31, v102
	s_wait_dscnt 0x0
	v_add_nc_u64_e32 v[2:3], v[2:3], v[100:101]
	v_add_nc_u64_e32 v[4:5], v[4:5], v[114:115]
	s_delay_alu instid0(VALU_DEP_3) | instskip(NEXT) | instid1(VALU_DEP_1)
	v_add_nc_u64_e32 v[118:119], v[118:119], v[102:103]
	v_cndmask_b32_e32 v117, 0, v119, vcc_lo
	s_delay_alu instid0(VALU_DEP_4) | instskip(NEXT) | instid1(VALU_DEP_4)
	v_add_nc_u64_e32 v[2:3], v[2:3], v[102:103]
	v_add_nc_u64_e32 v[4:5], v[4:5], v[102:103]
	s_delay_alu instid0(VALU_DEP_4)
	v_cndmask_b32_e32 v116, 0, v118, vcc_lo
	ds_store_b64 v0, v[2:3]
	ds_store_b64 v0, v[4:5]
	;; [unrolled: 1-line block ×3, first 2 shown]
.LBB4_80:                               ;   in Loop: Header=BB4_78 Depth=2
	s_or_b32 exec_lo, exec_lo, s13
	v_sub_nc_u32_e32 v2, v72, v102
	v_and_b32_e32 v3, 8, v30
	s_mov_b32 s14, exec_lo
	s_delay_alu instid0(VALU_DEP_2) | instskip(NEXT) | instid1(VALU_DEP_2)
	v_min_i32_e32 v112, v112, v2
	v_cmpx_ne_u32_e32 0, v3
	s_cbranch_execz .LBB4_102
; %bb.81:                               ;   in Loop: Header=BB4_78 Depth=2
	s_wait_loadcnt 0x0
	v_add_nc_u64_e32 v[4:5], 8, v[36:37]
	v_add_nc_u64_e32 v[2:3], 2, v[98:99]
	s_mov_b32 s15, exec_lo
	s_delay_alu instid0(VALU_DEP_1)
	v_cmpx_lt_u64_e64 v[4:5], v[2:3]
	s_cbranch_execz .LBB4_93
; %bb.82:                               ;   in Loop: Header=BB4_78 Depth=2
	v_and_b32_e32 v4, 64, v30
	s_mov_b32 s16, 0
	s_mov_b32 s45, 0
                                        ; implicit-def: $sgpr17
                                        ; implicit-def: $sgpr43
                                        ; implicit-def: $sgpr44
	s_delay_alu instid0(VALU_DEP_1)
	v_cmp_eq_u32_e32 vcc_lo, 0, v4
	s_branch .LBB4_86
.LBB4_83:                               ;   in Loop: Header=BB4_86 Depth=3
	s_wait_loadcnt_dscnt 0x0
	v_add_nc_u64_e32 v[116:117], 8, v[36:37]
	s_or_b32 s56, s56, exec_lo
	s_delay_alu instid0(VALU_DEP_1)
	v_cmp_ge_u64_e64 s13, v[116:117], v[2:3]
	s_or_not1_b32 s47, s13, exec_lo
.LBB4_84:                               ;   in Loop: Header=BB4_86 Depth=3
	s_or_b32 exec_lo, exec_lo, s58
	s_delay_alu instid0(SALU_CYCLE_1)
	s_and_not1_b32 s13, s44, exec_lo
	s_and_b32 s44, s56, exec_lo
	s_and_not1_b32 s43, s43, exec_lo
	s_and_b32 s47, s47, exec_lo
	s_or_b32 s44, s13, s44
	s_or_b32 s43, s43, s47
.LBB4_85:                               ;   in Loop: Header=BB4_86 Depth=3
	s_or_b32 exec_lo, exec_lo, s46
	s_delay_alu instid0(SALU_CYCLE_1) | instskip(NEXT) | instid1(SALU_CYCLE_1)
	s_and_b32 s13, exec_lo, s43
	s_or_b32 s16, s13, s16
	s_and_not1_b32 s13, s17, exec_lo
	s_and_b32 s17, s44, exec_lo
	s_delay_alu instid0(SALU_CYCLE_1)
	s_or_b32 s17, s13, s17
	s_and_not1_b32 exec_lo, exec_lo, s16
	s_cbranch_execz .LBB4_90
.LBB4_86:                               ;   Parent Loop BB4_73 Depth=1
                                        ;     Parent Loop BB4_78 Depth=2
                                        ; =>    This Inner Loop Header: Depth=3
	s_sleep 1
	s_wait_loadcnt_dscnt 0x0
	flat_load_b64 v[36:37], v[26:27] scope:SCOPE_SYS
	s_or_b32 s44, s44, exec_lo
	s_or_b32 s43, s43, exec_lo
                                        ; implicit-def: $vgpr4
	s_wait_xcnt 0x0
	s_and_saveexec_b32 s46, vcc_lo
	s_cbranch_execz .LBB4_85
; %bb.87:                               ;   in Loop: Header=BB4_86 Depth=3
	s_cmp_lt_i32 s45, 0x270f
	s_mov_b32 s47, -1
	s_cselect_b32 s57, -1, 0
	s_cmp_gt_i32 s45, 0x270e
	s_cbranch_scc0 .LBB4_89
; %bb.88:                               ;   in Loop: Header=BB4_86 Depth=3
	s_trap 2
	ds_load_b64 v[4:5], v0
	s_and_not1_b32 s45, s57, exec_lo
	s_mov_b32 s56, 0
	s_wait_storecnt 0x0
	s_wait_loadcnt_dscnt 0x0
	flat_load_b32 v4, v[4:5] scope:SCOPE_SYS
	s_wait_loadcnt_dscnt 0x0
	global_inv scope:SCOPE_SYS
	v_cmp_eq_u32_e64 s13, 0, v4
	s_and_b32 s13, s13, exec_lo
	s_delay_alu instid0(SALU_CYCLE_1)
	s_or_b32 s57, s45, s13
	s_mov_b32 s45, 0
	s_and_saveexec_b32 s58, s57
	s_cbranch_execz .LBB4_84
	s_branch .LBB4_83
.LBB4_89:                               ;   in Loop: Header=BB4_86 Depth=3
	s_add_co_i32 s45, s45, 1
	s_mov_b32 s56, -1
                                        ; implicit-def: $vgpr4
	s_and_saveexec_b32 s58, s57
	s_cbranch_execz .LBB4_84
	s_branch .LBB4_83
.LBB4_90:                               ;   in Loop: Header=BB4_78 Depth=2
	s_or_b32 exec_lo, exec_lo, s16
	s_xor_b32 s13, s17, -1
	s_delay_alu instid0(SALU_CYCLE_1) | instskip(NEXT) | instid1(SALU_CYCLE_1)
	s_and_saveexec_b32 s16, s13
	s_xor_b32 s13, exec_lo, s16
	s_cbranch_execz .LBB4_92
; %bb.91:                               ;   in Loop: Header=BB4_78 Depth=2
	v_or_b32_e32 v30, 64, v30
	s_wait_storecnt 0x0
	s_wait_loadcnt_dscnt 0x0
	ds_store_b32 v0, v4
	s_trap 2
.LBB4_92:                               ;   in Loop: Header=BB4_78 Depth=2
	s_or_b32 exec_lo, exec_lo, s13
.LBB4_93:                               ;   in Loop: Header=BB4_78 Depth=2
	s_delay_alu instid0(SALU_CYCLE_1) | instskip(SKIP_4) | instid1(VALU_DEP_2)
	s_or_b32 exec_lo, exec_lo, s15
	v_and_b32_e32 v4, 0x100, v30
	v_and_b32_e32 v48, 7, v98
	s_mov_b32 s13, -1
	;;#ASMSTART
	s_wakeup
	;;#ASMEND
	v_cmp_ne_u32_e32 vcc_lo, 0, v4
                                        ; implicit-def: $vgpr4_vgpr5
	s_and_saveexec_b32 s15, vcc_lo
	s_cbranch_execz .LBB4_97
; %bb.94:                               ;   in Loop: Header=BB4_78 Depth=2
	v_mad_nc_u64_u32 v[98:99], v48, 24, v[12:13]
	v_ashrrev_i32_e32 v113, 31, v112
	s_clause 0x1
	flat_load_b32 v4, v[98:99]
	flat_store_b64 v[98:99], v[112:113] offset:8
	s_wait_loadcnt_dscnt 0x1
	v_cmp_eq_u32_e64 s13, 1, v4
	v_cmp_ne_u32_e32 vcc_lo, 1, v4
                                        ; implicit-def: $vgpr4_vgpr5
	s_wait_xcnt 0x0
	s_and_saveexec_b32 s16, s13
	s_cbranch_execz .LBB4_96
; %bb.95:                               ;   in Loop: Header=BB4_78 Depth=2
	flat_load_b32 v4, v[98:99] offset:4 scope:SCOPE_SYS
	s_wait_loadcnt_dscnt 0x0
	v_ashrrev_i32_e32 v5, 31, v4
.LBB4_96:                               ;   in Loop: Header=BB4_78 Depth=2
	s_wait_xcnt 0x0
	s_or_b32 exec_lo, exec_lo, s16
	s_delay_alu instid0(SALU_CYCLE_1)
	s_or_not1_b32 s13, vcc_lo, exec_lo
.LBB4_97:                               ;   in Loop: Header=BB4_78 Depth=2
	s_or_b32 exec_lo, exec_lo, s15
	s_and_saveexec_b32 s15, s13
; %bb.98:                               ;   in Loop: Header=BB4_78 Depth=2
	v_mul_u64_e32 v[4:5], v[48:49], v[28:29]
; %bb.99:                               ;   in Loop: Header=BB4_78 Depth=2
	s_or_b32 exec_lo, exec_lo, s15
	s_delay_alu instid0(VALU_DEP_1)
	v_add_nc_u64_e32 v[4:5], v[32:33], v[4:5]
	v_and_b32_e32 v48, 0x2000, v30
	s_mov_b32 s13, exec_lo
	ds_store_b64 v0, v[4:5] offset:792
	v_cmpx_ne_u32_e32 0, v48
	s_cbranch_execz .LBB4_101
; %bb.100:                              ;   in Loop: Header=BB4_78 Depth=2
	ds_load_b64 v[4:5], v0 offset:872
	s_wait_dscnt 0x0
	v_add_nc_u64_e32 v[4:5], 1, v[4:5]
	ds_store_b64 v0, v[4:5] offset:872
.LBB4_101:                              ;   in Loop: Header=BB4_78 Depth=2
	s_or_b32 exec_lo, exec_lo, s13
	v_mov_b64_e32 v[98:99], v[2:3]
.LBB4_102:                              ;   in Loop: Header=BB4_78 Depth=2
	s_or_b32 exec_lo, exec_lo, s14
	s_and_saveexec_b32 s13, s1
	s_cbranch_execz .LBB4_121
; %bb.103:                              ;   in Loop: Header=BB4_78 Depth=2
	s_and_saveexec_b32 s14, s2
	s_delay_alu instid0(SALU_CYCLE_1)
	s_xor_b32 s14, exec_lo, s14
	s_cbranch_execz .LBB4_118
; %bb.104:                              ;   in Loop: Header=BB4_78 Depth=2
	s_and_saveexec_b32 s15, s5
	s_cbranch_execz .LBB4_117
; %bb.105:                              ;   in Loop: Header=BB4_78 Depth=2
	s_mov_b32 s17, exec_lo
	s_mov_b32 s16, exec_lo
	v_mbcnt_lo_u32_b32 v2, s17, 0
	global_wb scope:SCOPE_DEV
	s_wait_storecnt 0x0
	s_wait_loadcnt_dscnt 0x0
	global_inv scope:SCOPE_DEV
	v_cmpx_eq_u32_e32 0, v2
	s_cbranch_execz .LBB4_107
; %bb.106:                              ;   in Loop: Header=BB4_78 Depth=2
	s_bcnt1_i32_b32 s17, s17
	s_delay_alu instid0(SALU_CYCLE_1)
	v_mov_b32_e32 v48, s17
	s_wait_loadcnt 0x0
	ds_add_u64 v0, v[48:49]
	s_trap 2
.LBB4_107:                              ;   in Loop: Header=BB4_78 Depth=2
	s_or_b32 exec_lo, exec_lo, s16
	s_trap 2
	ds_load_b64 v[2:3], v0
	s_wait_dscnt 0x0
	v_add_nc_u64_e32 v[14:15], v[14:15], v[50:51]
	s_mov_b32 s16, exec_lo
	s_delay_alu instid0(VALU_DEP_1)
	v_cmpx_lt_u64_e64 v[2:3], v[14:15]
	s_cbranch_execz .LBB4_116
; %bb.108:                              ;   in Loop: Header=BB4_78 Depth=2
	s_mov_b32 s17, 0
	s_mov_b32 s45, 0
                                        ; implicit-def: $sgpr43
                                        ; implicit-def: $sgpr44
	s_branch .LBB4_110
.LBB4_109:                              ;   in Loop: Header=BB4_110 Depth=3
	s_or_b32 exec_lo, exec_lo, s47
	s_delay_alu instid0(SALU_CYCLE_1) | instskip(NEXT) | instid1(SALU_CYCLE_1)
	s_and_b32 s46, exec_lo, s56
	s_or_b32 s17, s46, s17
	s_and_not1_b32 s43, s43, exec_lo
	s_and_b32 s46, s44, exec_lo
	s_delay_alu instid0(SALU_CYCLE_1)
	s_or_b32 s43, s43, s46
	s_and_not1_b32 exec_lo, exec_lo, s17
	s_cbranch_execz .LBB4_114
.LBB4_110:                              ;   Parent Loop BB4_73 Depth=1
                                        ;     Parent Loop BB4_78 Depth=2
                                        ; =>    This Inner Loop Header: Depth=3
	s_add_co_i32 s45, s45, 1
	s_delay_alu instid0(SALU_CYCLE_1) | instskip(SKIP_1) | instid1(SALU_CYCLE_1)
	s_cmp_lg_u32 s45, 0x2710
	s_cselect_b32 s46, -1, 0
	s_and_b32 vcc_lo, exec_lo, s46
	s_cbranch_vccz .LBB4_112
; %bb.111:                              ;   in Loop: Header=BB4_110 Depth=3
	s_mov_b32 s56, -1
	s_or_b32 s44, s44, exec_lo
	s_and_saveexec_b32 s47, s46
	s_cbranch_execz .LBB4_109
	s_branch .LBB4_113
.LBB4_112:                              ;   in Loop: Header=BB4_110 Depth=3
	s_trap 2
	ds_load_b64 v[2:3], v0
	s_and_not1_b32 s46, s46, exec_lo
	s_mov_b32 s45, 0
	s_wait_loadcnt_dscnt 0x0
	flat_load_b32 v2, v[2:3] scope:SCOPE_SYS
	s_wait_loadcnt_dscnt 0x0
	global_inv scope:SCOPE_SYS
	v_cmp_eq_u32_e32 vcc_lo, 0, v2
	s_and_b32 s47, vcc_lo, exec_lo
	s_delay_alu instid0(SALU_CYCLE_1)
	s_or_b32 s46, s46, s47
	s_mov_b32 s56, -1
	s_or_b32 s44, s44, exec_lo
	s_and_saveexec_b32 s47, s46
	s_cbranch_execz .LBB4_109
.LBB4_113:                              ;   in Loop: Header=BB4_110 Depth=3
	s_sleep 1
	s_trap 2
	ds_load_b64 v[2:3], v0
	s_wait_dscnt 0x0
	s_and_not1_b32 s44, s44, exec_lo
	v_cmp_ge_u64_e32 vcc_lo, v[2:3], v[14:15]
	s_or_not1_b32 s56, vcc_lo, exec_lo
	s_branch .LBB4_109
.LBB4_114:                              ;   in Loop: Header=BB4_78 Depth=2
	s_or_b32 exec_lo, exec_lo, s17
	s_and_saveexec_b32 s17, s43
	s_delay_alu instid0(SALU_CYCLE_1)
	s_xor_b32 s17, exec_lo, s17
	s_cbranch_execz .LBB4_116
; %bb.115:                              ;   in Loop: Header=BB4_78 Depth=2
	ds_store_b32 v0, v58
	s_trap 2
.LBB4_116:                              ;   in Loop: Header=BB4_78 Depth=2
	s_or_b32 exec_lo, exec_lo, s16
	;;#ASMSTART
	s_wakeup
	;;#ASMEND
.LBB4_117:                              ;   in Loop: Header=BB4_78 Depth=2
	s_or_b32 exec_lo, exec_lo, s15
.LBB4_118:                              ;   in Loop: Header=BB4_78 Depth=2
	s_and_not1_saveexec_b32 s14, s14
	s_cbranch_execz .LBB4_120
; %bb.119:                              ;   in Loop: Header=BB4_78 Depth=2
	global_wb scope:SCOPE_DEV
	s_wait_storecnt 0x0
	s_wait_loadcnt_dscnt 0x0
	global_inv scope:SCOPE_DEV
	s_barrier_signal -1
	s_barrier_wait -1
.LBB4_120:                              ;   in Loop: Header=BB4_78 Depth=2
	s_or_b32 exec_lo, exec_lo, s14
.LBB4_121:                              ;   in Loop: Header=BB4_78 Depth=2
	s_delay_alu instid0(SALU_CYCLE_1) | instskip(SKIP_3) | instid1(VALU_DEP_1)
	s_or_b32 exec_lo, exec_lo, s13
	s_trap 2
	ds_load_b32 v2, v0
	v_and_b32_e32 v3, 0x4000, v30
	v_cmp_ne_u32_e32 vcc_lo, 0, v3
	s_and_b32 s14, s27, vcc_lo
	s_delay_alu instid0(SALU_CYCLE_1)
	s_and_saveexec_b32 s13, s14
	s_cbranch_execz .LBB4_140
; %bb.122:                              ;   in Loop: Header=BB4_78 Depth=2
	s_and_saveexec_b32 s14, s2
	s_delay_alu instid0(SALU_CYCLE_1)
	s_xor_b32 s14, exec_lo, s14
	s_cbranch_execz .LBB4_137
; %bb.123:                              ;   in Loop: Header=BB4_78 Depth=2
	s_and_saveexec_b32 s15, s5
	s_cbranch_execz .LBB4_136
; %bb.124:                              ;   in Loop: Header=BB4_78 Depth=2
	s_mov_b32 s17, exec_lo
	s_mov_b32 s16, exec_lo
	v_mbcnt_lo_u32_b32 v3, s17, 0
	global_wb scope:SCOPE_DEV
	s_wait_storecnt 0x0
	s_wait_loadcnt_dscnt 0x0
	global_inv scope:SCOPE_DEV
	v_cmpx_eq_u32_e32 0, v3
	s_cbranch_execz .LBB4_126
; %bb.125:                              ;   in Loop: Header=BB4_78 Depth=2
	s_bcnt1_i32_b32 s17, s17
	s_delay_alu instid0(SALU_CYCLE_1)
	v_mov_b32_e32 v48, s17
	s_wait_loadcnt 0x0
	ds_add_u64 v0, v[48:49]
	s_trap 2
.LBB4_126:                              ;   in Loop: Header=BB4_78 Depth=2
	s_or_b32 exec_lo, exec_lo, s16
	s_trap 2
	ds_load_b64 v[4:5], v0
	s_wait_dscnt 0x0
	v_add_nc_u64_e32 v[14:15], v[14:15], v[50:51]
	s_mov_b32 s16, exec_lo
	s_delay_alu instid0(VALU_DEP_1)
	v_cmpx_lt_u64_e64 v[4:5], v[14:15]
	s_cbranch_execz .LBB4_135
; %bb.127:                              ;   in Loop: Header=BB4_78 Depth=2
	s_mov_b32 s17, 0
	s_mov_b32 s45, 0
                                        ; implicit-def: $sgpr43
                                        ; implicit-def: $sgpr44
	s_branch .LBB4_129
.LBB4_128:                              ;   in Loop: Header=BB4_129 Depth=3
	s_or_b32 exec_lo, exec_lo, s47
	s_delay_alu instid0(SALU_CYCLE_1) | instskip(NEXT) | instid1(SALU_CYCLE_1)
	s_and_b32 s46, exec_lo, s56
	s_or_b32 s17, s46, s17
	s_and_not1_b32 s43, s43, exec_lo
	s_and_b32 s46, s44, exec_lo
	s_delay_alu instid0(SALU_CYCLE_1)
	s_or_b32 s43, s43, s46
	s_and_not1_b32 exec_lo, exec_lo, s17
	s_cbranch_execz .LBB4_133
.LBB4_129:                              ;   Parent Loop BB4_73 Depth=1
                                        ;     Parent Loop BB4_78 Depth=2
                                        ; =>    This Inner Loop Header: Depth=3
	s_add_co_i32 s45, s45, 1
	s_delay_alu instid0(SALU_CYCLE_1) | instskip(SKIP_1) | instid1(SALU_CYCLE_1)
	s_cmp_lg_u32 s45, 0x2710
	s_cselect_b32 s46, -1, 0
	s_and_b32 vcc_lo, exec_lo, s46
	s_cbranch_vccz .LBB4_131
; %bb.130:                              ;   in Loop: Header=BB4_129 Depth=3
	s_mov_b32 s56, -1
	s_or_b32 s44, s44, exec_lo
	s_and_saveexec_b32 s47, s46
	s_cbranch_execz .LBB4_128
	s_branch .LBB4_132
.LBB4_131:                              ;   in Loop: Header=BB4_129 Depth=3
	s_trap 2
	ds_load_b64 v[4:5], v0
	s_and_not1_b32 s46, s46, exec_lo
	s_mov_b32 s45, 0
	s_wait_loadcnt_dscnt 0x0
	flat_load_b32 v3, v[4:5] scope:SCOPE_SYS
	s_wait_loadcnt_dscnt 0x0
	global_inv scope:SCOPE_SYS
	v_cmp_eq_u32_e32 vcc_lo, 0, v3
	s_and_b32 s47, vcc_lo, exec_lo
	s_delay_alu instid0(SALU_CYCLE_1)
	s_or_b32 s46, s46, s47
	s_mov_b32 s56, -1
	s_or_b32 s44, s44, exec_lo
	s_and_saveexec_b32 s47, s46
	s_cbranch_execz .LBB4_128
.LBB4_132:                              ;   in Loop: Header=BB4_129 Depth=3
	s_sleep 1
	s_trap 2
	ds_load_b64 v[4:5], v0
	s_wait_dscnt 0x0
	s_and_not1_b32 s44, s44, exec_lo
	v_cmp_ge_u64_e32 vcc_lo, v[4:5], v[14:15]
	s_or_not1_b32 s56, vcc_lo, exec_lo
	s_branch .LBB4_128
.LBB4_133:                              ;   in Loop: Header=BB4_78 Depth=2
	s_or_b32 exec_lo, exec_lo, s17
	s_and_saveexec_b32 s17, s43
	s_delay_alu instid0(SALU_CYCLE_1)
	s_xor_b32 s17, exec_lo, s17
	s_cbranch_execz .LBB4_135
; %bb.134:                              ;   in Loop: Header=BB4_78 Depth=2
	ds_store_b32 v0, v58
	s_trap 2
.LBB4_135:                              ;   in Loop: Header=BB4_78 Depth=2
	s_or_b32 exec_lo, exec_lo, s16
	;;#ASMSTART
	s_wakeup
	;;#ASMEND
.LBB4_136:                              ;   in Loop: Header=BB4_78 Depth=2
	s_or_b32 exec_lo, exec_lo, s15
.LBB4_137:                              ;   in Loop: Header=BB4_78 Depth=2
	s_and_not1_saveexec_b32 s14, s14
	s_cbranch_execz .LBB4_139
; %bb.138:                              ;   in Loop: Header=BB4_78 Depth=2
	global_wb scope:SCOPE_DEV
	s_wait_storecnt 0x0
	s_wait_loadcnt_dscnt 0x0
	global_inv scope:SCOPE_DEV
	s_barrier_signal -1
	s_barrier_wait -1
.LBB4_139:                              ;   in Loop: Header=BB4_78 Depth=2
	s_or_b32 exec_lo, exec_lo, s14
.LBB4_140:                              ;   in Loop: Header=BB4_78 Depth=2
	s_delay_alu instid0(SALU_CYCLE_1)
	s_or_b32 exec_lo, exec_lo, s13
	s_trap 2
	ds_load_b64 v[116:117], v0
	s_wait_dscnt 0x0
	v_cmp_eq_u64_e32 vcc_lo, 0, v[116:117]
	s_cbranch_vccnz .LBB4_149
; %bb.141:                              ;   in Loop: Header=BB4_78 Depth=2
	s_trap 2
	ds_load_b64 v[118:119], v0
	s_wait_dscnt 0x0
	v_cmp_eq_u64_e32 vcc_lo, 0, v[118:119]
	s_cbranch_vccnz .LBB4_149
; %bb.142:                              ;   in Loop: Header=BB4_78 Depth=2
	s_trap 2
	ds_load_b64 v[40:41], v0
	v_cmp_eq_u32_e64 s13, 0, v2
	s_delay_alu instid0(VALU_DEP_1)
	v_cndmask_b32_e64 v48, 0, v112, s13
	s_mov_b32 s13, -1
	s_wait_dscnt 0x0
	v_cmp_ne_u64_e32 vcc_lo, 0, v[40:41]
	s_cbranch_vccz .LBB4_182
; %bb.143:                              ;   in Loop: Header=BB4_78 Depth=2
	s_and_saveexec_b32 s14, s6
	s_cbranch_execz .LBB4_145
; %bb.144:                              ;   in Loop: Header=BB4_78 Depth=2
	ds_load_b32 v2, v0 offset:720
	s_wait_dscnt 0x0
	v_and_b32_e32 v2, 15, v2
	s_delay_alu instid0(VALU_DEP_1)
	v_cmp_eq_u32_e32 vcc_lo, 0, v2
	s_or_not1_b32 s13, vcc_lo, exec_lo
.LBB4_145:                              ;   in Loop: Header=BB4_78 Depth=2
	s_or_b32 exec_lo, exec_lo, s14
	s_and_saveexec_b32 s14, s10
	s_cbranch_execz .LBB4_147
; %bb.146:                              ;   in Loop: Header=BB4_78 Depth=2
	ds_load_b32 v2, v0 offset:784
	s_wait_dscnt 0x0
	v_and_b32_e32 v2, 15, v2
	s_delay_alu instid0(VALU_DEP_1) | instskip(SKIP_3) | instid1(SALU_CYCLE_1)
	v_cmp_eq_u32_e32 vcc_lo, 0, v2
	s_and_b32 s15, s13, vcc_lo
	s_and_not1_b32 s13, s13, exec_lo
	s_and_b32 s15, s15, exec_lo
	s_or_b32 s13, s13, s15
.LBB4_147:                              ;   in Loop: Header=BB4_78 Depth=2
	s_or_b32 exec_lo, exec_lo, s14
	s_xor_b32 s13, s13, -1
	v_dual_mov_b32 v103, 0 :: v_dual_mov_b32 v113, v48
	v_cndmask_b32_e64 v2, 0, 1, s13
	v_mov_b32_e32 v42, v0
	s_mov_b32 s14, -1
	s_delay_alu instid0(VALU_DEP_2)
	v_cmp_ne_u32_e32 vcc_lo, 0, v2
	v_mov_b32_e32 v2, v61
	s_cbranch_vccz .LBB4_154
; %bb.148:                              ;   in Loop: Header=BB4_78 Depth=2
	s_and_saveexec_b32 s15, s14
	s_cbranch_execnz .LBB4_171
	s_branch .LBB4_181
.LBB4_149:                              ;   in Loop: Header=BB4_78 Depth=2
	s_mov_b32 s13, 0
	s_and_saveexec_b32 s14, s1
	s_cbranch_execnz .LBB4_212
.LBB4_150:                              ;   in Loop: Header=BB4_78 Depth=2
	s_or_b32 exec_lo, exec_lo, s14
                                        ; implicit-def: $vgpr2
	s_and_saveexec_b32 s14, s7
	s_delay_alu instid0(SALU_CYCLE_1)
	s_xor_b32 s14, exec_lo, s14
	s_cbranch_execz .LBB4_230
.LBB4_151:                              ;   in Loop: Header=BB4_78 Depth=2
	v_and_b32_e32 v2, 16, v30
	s_delay_alu instid0(VALU_DEP_1) | instskip(SKIP_2) | instid1(SALU_CYCLE_1)
	v_cmp_ne_u32_e32 vcc_lo, 0, v2
	v_and_b32_e32 v2, 16, v30
	s_and_b32 s15, vcc_lo, s13
	s_and_saveexec_b32 s13, s15
	s_cbranch_execz .LBB4_153
; %bb.152:                              ;   in Loop: Header=BB4_78 Depth=2
	v_mov_b32_e32 v2, 1
	global_wb scope:SCOPE_SYS
	s_wait_storecnt 0x0
	s_wait_loadcnt_dscnt 0x0
	global_inv scope:SCOPE_SYS
.LBB4_153:                              ;   in Loop: Header=BB4_78 Depth=2
	s_or_b32 exec_lo, exec_lo, s13
	s_and_not1_saveexec_b32 s13, s14
	s_cbranch_execz .LBB4_249
	s_branch .LBB4_231
.LBB4_154:                              ;   in Loop: Header=BB4_78 Depth=2
	v_ashrrev_i32_e32 v2, 31, v48
	s_mov_b32 s43, exec_lo
	s_delay_alu instid0(VALU_DEP_1) | instskip(NEXT) | instid1(VALU_DEP_1)
	v_dual_sub_nc_u32 v103, v48, v52 :: v_dual_lshrrev_b32 v2, 23, v2
	v_add_nc_u32_e32 v2, v48, v2
	s_delay_alu instid0(VALU_DEP_1) | instskip(SKIP_1) | instid1(VALU_DEP_2)
	v_and_b32_e32 v74, 0xfffffe00, v2
	v_ashrrev_i32_e32 v2, 9, v2
	v_sub_nc_u32_e32 v76, v48, v74
	s_delay_alu instid0(VALU_DEP_1) | instskip(NEXT) | instid1(VALU_DEP_1)
	v_cmp_lt_i32_e64 s13, 15, v76
	v_add_co_ci_u32_e64 v77, null, v2, v63, s13
	v_cmpx_lt_i32_e32 15, v103
	s_cbranch_execz .LBB4_160
; %bb.155:                              ;   in Loop: Header=BB4_78 Depth=2
	v_add_nc_u64_e32 v[42:43], v[116:117], v[52:53]
	v_add_nc_u64_e32 v[44:45], v[118:119], v[52:53]
	;; [unrolled: 1-line block ×3, first 2 shown]
	s_mov_b32 s44, 0
.LBB4_156:                              ;   Parent Loop BB4_73 Depth=1
                                        ;     Parent Loop BB4_78 Depth=2
                                        ; =>    This Loop Header: Depth=3
                                        ;         Child Loop BB4_157 Depth 4
	global_load_b128 v[2:5], v[42:43], off th:TH_LOAD_NT
	s_mov_b64 s[16:17], 0
	s_mov_b32 s45, -1
.LBB4_157:                              ;   Parent Loop BB4_73 Depth=1
                                        ;     Parent Loop BB4_78 Depth=2
                                        ;       Parent Loop BB4_156 Depth=3
                                        ; =>      This Inner Loop Header: Depth=4
	s_cmp_eq_u32 s16, 1
	s_cselect_b32 vcc_lo, -1, 0
	s_cmp_eq_u32 s16, 0
	s_wait_xcnt 0x0
	v_dual_cndmask_b32 v79, v45, v47 :: v_dual_cndmask_b32 v78, v44, v46
	s_cselect_b32 s14, -1, 0
	s_and_b32 s15, exec_lo, s45
	s_mov_b64 s[16:17], 1
	s_mov_b32 s45, 0
	v_add_nc_u64_e32 v[88:89], 0x200, v[78:79]
	s_wait_loadcnt 0x0
	global_store_b128 v[78:79], v[2:5], off th:TH_STORE_NT
	v_dual_cndmask_b32 v47, v47, v89 :: v_dual_cndmask_b32 v46, v46, v88
	v_dual_cndmask_b32 v45, v45, v89, s14 :: v_dual_cndmask_b32 v44, v44, v88, s14
	s_mov_b32 vcc_lo, s15
	s_cbranch_vccnz .LBB4_157
; %bb.158:                              ;   in Loop: Header=BB4_156 Depth=3
	v_dual_sub_nc_u32 v103, v103, v60 :: v_dual_sub_nc_u32 v77, v77, v50
	s_delay_alu instid0(VALU_DEP_2)
	v_add_nc_u64_e32 v[44:45], v[44:45], v[82:83]
	v_add_nc_u64_e32 v[46:47], v[46:47], v[82:83]
	s_wait_xcnt 0x1
	v_add_nc_u64_e32 v[42:43], v[86:87], v[42:43]
	v_cmp_gt_i32_e32 vcc_lo, 16, v103
	s_or_b32 s44, vcc_lo, s44
	s_wait_xcnt 0x0
	s_and_not1_b32 exec_lo, exec_lo, s44
	s_cbranch_execnz .LBB4_156
; %bb.159:                              ;   in Loop: Header=BB4_78 Depth=2
	s_or_b32 exec_lo, exec_lo, s44
.LBB4_160:                              ;   in Loop: Header=BB4_78 Depth=2
	s_delay_alu instid0(SALU_CYCLE_1) | instskip(SKIP_3) | instid1(VALU_DEP_1)
	s_or_b32 exec_lo, exec_lo, s43
	v_dual_mov_b32 v103, 0 :: v_dual_bitop2_b32 v3, 15, v48 bitop3:0x40
	s_mov_b32 s14, 0
	s_mov_b32 s43, exec_lo
                                        ; implicit-def: $vgpr113
                                        ; implicit-def: $vgpr42
                                        ; implicit-def: $vgpr2
	v_cndmask_b32_e64 v75, v76, v3, s13
	s_delay_alu instid0(VALU_DEP_1)
	v_cmpx_ne_u32_e32 0, v75
	s_cbranch_execz .LBB4_170
; %bb.161:                              ;   in Loop: Header=BB4_78 Depth=2
	v_cmp_lt_i32_e32 vcc_lo, 0, v77
	s_mov_b32 s44, exec_lo
	v_ashrrev_i32_e32 v5, 31, v75
	v_dual_cndmask_b32 v2, 0, v50 :: v_dual_sub_nc_u32 v3, v76, v3
	s_delay_alu instid0(VALU_DEP_1) | instskip(NEXT) | instid1(VALU_DEP_2)
	v_dual_lshrrev_b32 v5, 23, v5 :: v_dual_cndmask_b32 v3, 0, v3, s13
	v_sub_nc_u32_e32 v2, v2, v77
	s_delay_alu instid0(VALU_DEP_2) | instskip(NEXT) | instid1(VALU_DEP_2)
	v_add_nc_u32_e32 v5, v75, v5
	v_lshl_add_u32 v2, v2, 5, v62
	s_delay_alu instid0(VALU_DEP_2) | instskip(NEXT) | instid1(VALU_DEP_1)
	v_and_b32_e32 v77, 0xfffffe00, v5
	v_dual_ashrrev_i32 v4, 31, v2 :: v_dual_sub_nc_u32 v76, v75, v77
	s_delay_alu instid0(VALU_DEP_1) | instskip(NEXT) | instid1(VALU_DEP_2)
	v_lshrrev_b32_e32 v4, 27, v4
	v_cmp_lt_i32_e64 s13, 15, v76
	s_delay_alu instid0(VALU_DEP_2) | instskip(NEXT) | instid1(VALU_DEP_1)
	v_add_nc_u32_e32 v4, v2, v4
	v_and_b32_e32 v103, 0xffffffe0, v4
	s_delay_alu instid0(VALU_DEP_1) | instskip(NEXT) | instid1(VALU_DEP_1)
	v_dual_ashrrev_i32 v4, 5, v4 :: v_dual_sub_nc_u32 v78, v2, v103
	v_lshlrev_b32_e32 v2, 4, v78
	s_delay_alu instid0(VALU_DEP_1) | instskip(NEXT) | instid1(VALU_DEP_1)
	v_lshl_add_u32 v2, v4, 9, v2
	v_dual_ashrrev_i32 v5, 9, v5 :: v_dual_sub_nc_u32 v103, v75, v2
	s_delay_alu instid0(VALU_DEP_1) | instskip(NEXT) | instid1(VALU_DEP_1)
	v_add_co_ci_u32_e64 v5, null, 0, v5, s13
	v_dual_add_nc_u32 v74, v3, v74 :: v_dual_sub_nc_u32 v79, v5, v4
	s_delay_alu instid0(VALU_DEP_3)
	v_cmpx_lt_i32_e32 15, v103
	s_cbranch_execz .LBB4_167
; %bb.162:                              ;   in Loop: Header=BB4_78 Depth=2
	s_delay_alu instid0(VALU_DEP_2) | instskip(SKIP_1) | instid1(VALU_DEP_1)
	v_add_nc_u32_e32 v2, v2, v74
	s_mov_b32 s45, 0
	v_ashrrev_i32_e32 v3, 31, v2
	s_delay_alu instid0(VALU_DEP_1)
	v_add_nc_u64_e32 v[42:43], v[2:3], v[116:117]
	v_add_nc_u64_e32 v[44:45], v[2:3], v[118:119]
	;; [unrolled: 1-line block ×3, first 2 shown]
.LBB4_163:                              ;   Parent Loop BB4_73 Depth=1
                                        ;     Parent Loop BB4_78 Depth=2
                                        ; =>    This Loop Header: Depth=3
                                        ;         Child Loop BB4_164 Depth 4
	global_load_b128 v[2:5], v[42:43], off th:TH_LOAD_NT
	s_mov_b64 s[16:17], 0
	s_mov_b32 s46, -1
.LBB4_164:                              ;   Parent Loop BB4_73 Depth=1
                                        ;     Parent Loop BB4_78 Depth=2
                                        ;       Parent Loop BB4_163 Depth=3
                                        ; =>      This Inner Loop Header: Depth=4
	s_cmp_eq_u32 s16, 1
	s_cselect_b32 vcc_lo, -1, 0
	s_cmp_eq_u32 s16, 0
	s_wait_xcnt 0x0
	v_dual_cndmask_b32 v89, v45, v47 :: v_dual_cndmask_b32 v88, v44, v46
	s_cselect_b32 s14, -1, 0
	s_and_b32 s15, exec_lo, s46
	s_mov_b64 s[16:17], 1
	s_mov_b32 s46, 0
	v_add_nc_u64_e32 v[90:91], 0x200, v[88:89]
	s_wait_loadcnt 0x0
	global_store_b128 v[88:89], v[2:5], off th:TH_STORE_NT
	v_dual_cndmask_b32 v47, v47, v91 :: v_dual_cndmask_b32 v46, v46, v90
	v_dual_cndmask_b32 v45, v45, v91, s14 :: v_dual_cndmask_b32 v44, v44, v90, s14
	s_mov_b32 vcc_lo, s15
	s_cbranch_vccnz .LBB4_164
; %bb.165:                              ;   in Loop: Header=BB4_163 Depth=3
	v_sub_nc_u32_e32 v103, v103, v60
	s_delay_alu instid0(VALU_DEP_2)
	v_add_nc_u64_e32 v[44:45], v[44:45], v[82:83]
	v_add_nc_u64_e32 v[46:47], v[46:47], v[82:83]
	s_wait_xcnt 0x1
	v_add_nc_u64_e32 v[42:43], v[86:87], v[42:43]
	v_sub_nc_u32_e32 v79, v79, v50
	v_cmp_gt_i32_e32 vcc_lo, 16, v103
	s_or_b32 s45, vcc_lo, s45
	s_wait_xcnt 0x0
	s_and_not1_b32 exec_lo, exec_lo, s45
	s_cbranch_execnz .LBB4_163
; %bb.166:                              ;   in Loop: Header=BB4_78 Depth=2
	s_or_b32 exec_lo, exec_lo, s45
.LBB4_167:                              ;   in Loop: Header=BB4_78 Depth=2
	s_delay_alu instid0(SALU_CYCLE_1) | instskip(SKIP_3) | instid1(VALU_DEP_1)
	s_or_b32 exec_lo, exec_lo, s44
	v_dual_mov_b32 v103, 0 :: v_dual_bitop2_b32 v3, 15, v75 bitop3:0x40
	s_mov_b32 s14, 0
	s_mov_b32 s15, exec_lo
                                        ; implicit-def: $vgpr42
                                        ; implicit-def: $vgpr2
	v_cndmask_b32_e64 v113, v76, v3, s13
	s_delay_alu instid0(VALU_DEP_1)
	v_cmpx_ne_u32_e32 0, v113
	s_cbranch_execz .LBB4_169
; %bb.168:                              ;   in Loop: Header=BB4_78 Depth=2
	v_cmp_lt_i32_e32 vcc_lo, 0, v79
	s_mov_b32 s14, exec_lo
	v_dual_cndmask_b32 v2, 0, v50 :: v_dual_sub_nc_u32 v3, v76, v3
	s_delay_alu instid0(VALU_DEP_1) | instskip(NEXT) | instid1(VALU_DEP_2)
	v_cndmask_b32_e64 v3, 0, v3, s13
	v_sub_nc_u32_e32 v2, v2, v79
	s_delay_alu instid0(VALU_DEP_2) | instskip(NEXT) | instid1(VALU_DEP_2)
	v_add3_u32 v103, v77, v74, v3
	v_lshl_add_u32 v42, v2, 5, v78
	s_delay_alu instid0(VALU_DEP_1) | instskip(NEXT) | instid1(VALU_DEP_1)
	v_ashrrev_i32_e32 v2, 31, v42
	v_lshrrev_b32_e32 v2, 27, v2
	s_delay_alu instid0(VALU_DEP_1) | instskip(NEXT) | instid1(VALU_DEP_1)
	v_add_nc_u32_e32 v2, v42, v2
	v_ashrrev_i32_e32 v2, 5, v2
.LBB4_169:                              ;   in Loop: Header=BB4_78 Depth=2
	s_or_b32 exec_lo, exec_lo, s15
	s_delay_alu instid0(SALU_CYCLE_1)
	s_and_b32 s14, s14, exec_lo
.LBB4_170:                              ;   in Loop: Header=BB4_78 Depth=2
	s_or_b32 exec_lo, exec_lo, s43
	s_and_saveexec_b32 s15, s14
	s_cbranch_execz .LBB4_181
.LBB4_171:                              ;   in Loop: Header=BB4_78 Depth=2
	v_ashrrev_i32_e32 v3, 31, v113
	s_mov_b32 s13, exec_lo
	s_delay_alu instid0(VALU_DEP_1) | instskip(NEXT) | instid1(VALU_DEP_1)
	v_lshrrev_b32_e32 v3, 24, v3
	v_add_nc_u32_e32 v3, v113, v3
	s_delay_alu instid0(VALU_DEP_1) | instskip(NEXT) | instid1(VALU_DEP_1)
	v_ashrrev_i32_e32 v44, 8, v3
	v_sub_nc_u32_e32 v43, v44, v2
	s_delay_alu instid0(VALU_DEP_1)
	v_cmpx_lt_i32_e32 0, v43
	s_cbranch_execz .LBB4_175
; %bb.172:                              ;   in Loop: Header=BB4_78 Depth=2
	v_ashrrev_i32_e32 v3, 31, v42
	v_add_nc_u64_e32 v[74:75], 0xe0, v[116:117]
	s_mov_b32 s14, 0
	s_delay_alu instid0(VALU_DEP_2) | instskip(NEXT) | instid1(VALU_DEP_1)
	v_dual_lshlrev_b32 v2, 8, v2 :: v_dual_lshrrev_b32 v3, 27, v3
	v_add_nc_u32_e32 v3, v42, v3
	s_delay_alu instid0(VALU_DEP_1) | instskip(NEXT) | instid1(VALU_DEP_1)
	v_and_b32_e32 v3, 0xffffffe0, v3
	v_sub_nc_u32_e32 v3, v42, v3
	s_delay_alu instid0(VALU_DEP_1) | instskip(NEXT) | instid1(VALU_DEP_1)
	v_add3_u32 v46, v103, v3, v2
	v_ashrrev_i32_e32 v47, 31, v46
	s_delay_alu instid0(VALU_DEP_1)
	v_add_nc_u64_e32 v[2:3], v[46:47], v[118:119]
	v_add_nc_u64_e32 v[4:5], v[46:47], v[40:41]
	;; [unrolled: 1-line block ×3, first 2 shown]
.LBB4_173:                              ;   Parent Loop BB4_73 Depth=1
                                        ;     Parent Loop BB4_78 Depth=2
                                        ; =>    This Inner Loop Header: Depth=3
	s_clause 0x7
	flat_load_u8 v45, v[40:41] offset:-224 th:TH_LOAD_NT
	flat_load_u8 v46, v[40:41] offset:-192 th:TH_LOAD_NT
	;; [unrolled: 1-line block ×7, first 2 shown]
	flat_load_u8 v78, v[40:41] th:TH_LOAD_NT
	v_sub_nc_u32_e32 v43, v43, v50
	s_wait_xcnt 0x0
	v_add_nc_u64_e32 v[40:41], v[40:41], v[68:69]
	s_wait_loadcnt_dscnt 0x707
	flat_store_b8 v[2:3], v45 th:TH_STORE_NT
	s_wait_loadcnt_dscnt 0x607
	flat_store_b8 v[2:3], v46 offset:32 th:TH_STORE_NT
	s_wait_loadcnt_dscnt 0x507
	flat_store_b8 v[2:3], v47 offset:64 th:TH_STORE_NT
	;; [unrolled: 2-line block ×7, first 2 shown]
	s_clause 0x7
	flat_store_b8 v[4:5], v45 th:TH_STORE_NT
	flat_store_b8 v[4:5], v46 offset:32 th:TH_STORE_NT
	flat_store_b8 v[4:5], v47 offset:64 th:TH_STORE_NT
	;; [unrolled: 1-line block ×7, first 2 shown]
	v_cmp_gt_i32_e32 vcc_lo, 1, v43
	s_wait_xcnt 0x8
	v_add_nc_u64_e32 v[2:3], v[2:3], v[68:69]
	s_wait_xcnt 0x0
	v_add_nc_u64_e32 v[4:5], v[4:5], v[68:69]
	s_or_b32 s14, vcc_lo, s14
	s_delay_alu instid0(SALU_CYCLE_1)
	s_and_not1_b32 exec_lo, exec_lo, s14
	s_cbranch_execnz .LBB4_173
; %bb.174:                              ;   in Loop: Header=BB4_78 Depth=2
	s_or_b32 exec_lo, exec_lo, s14
.LBB4_175:                              ;   in Loop: Header=BB4_78 Depth=2
	s_delay_alu instid0(SALU_CYCLE_1) | instskip(SKIP_1) | instid1(VALU_DEP_1)
	s_or_b32 exec_lo, exec_lo, s13
	v_lshlrev_b32_e32 v2, 8, v44
	v_cmp_ne_u32_e32 vcc_lo, v113, v2
	s_and_b32 exec_lo, exec_lo, vcc_lo
	s_cbranch_execz .LBB4_181
; %bb.176:                              ;   in Loop: Header=BB4_78 Depth=2
	v_dual_ashrrev_i32 v3, 31, v42 :: v_dual_lshlrev_b32 v4, 5, v43
	s_delay_alu instid0(VALU_DEP_1) | instskip(NEXT) | instid1(VALU_DEP_1)
	v_lshrrev_b32_e32 v3, 27, v3
	v_add_nc_u32_e32 v3, v42, v3
	s_delay_alu instid0(VALU_DEP_1) | instskip(NEXT) | instid1(VALU_DEP_1)
	v_and_b32_e32 v3, 0xffffffe0, v3
	v_sub_nc_u32_e32 v3, v42, v3
	s_delay_alu instid0(VALU_DEP_1) | instskip(NEXT) | instid1(VALU_DEP_1)
	v_sub_nc_u32_e32 v3, v3, v4
	v_add_nc_u32_e32 v2, v2, v3
	s_delay_alu instid0(VALU_DEP_1) | instskip(NEXT) | instid1(VALU_DEP_1)
	v_sub_nc_u32_e32 v113, v113, v2
	v_cmp_lt_i32_e32 vcc_lo, 0, v113
	s_and_b32 exec_lo, exec_lo, vcc_lo
	s_cbranch_execz .LBB4_181
; %bb.177:                              ;   in Loop: Header=BB4_78 Depth=2
	s_trap 2
	ds_load_b64 v[4:5], v0
	ds_load_b128 v[40:43], v0
	v_add_nc_u32_e32 v44, v2, v103
	s_mov_b32 s43, 0
	s_delay_alu instid0(VALU_DEP_1) | instskip(SKIP_1) | instid1(VALU_DEP_1)
	v_ashrrev_i32_e32 v45, 31, v44
	s_wait_dscnt 0x1
	v_add_nc_u64_e32 v[2:3], v[4:5], v[44:45]
	s_wait_dscnt 0x0
	v_add_nc_u64_e32 v[4:5], v[40:41], v[44:45]
	v_add_nc_u64_e32 v[40:41], v[42:43], v[44:45]
.LBB4_178:                              ;   Parent Loop BB4_73 Depth=1
                                        ;     Parent Loop BB4_78 Depth=2
                                        ; =>    This Loop Header: Depth=3
                                        ;         Child Loop BB4_179 Depth 4
	flat_load_u8 v103, v[2:3] th:TH_LOAD_NT
	s_mov_b64 s[16:17], 0
	s_mov_b32 s44, -1
.LBB4_179:                              ;   Parent Loop BB4_73 Depth=1
                                        ;     Parent Loop BB4_78 Depth=2
                                        ;       Parent Loop BB4_178 Depth=3
                                        ; =>      This Inner Loop Header: Depth=4
	s_cmp_eq_u32 s16, 1
	s_cselect_b32 vcc_lo, -1, 0
	s_cmp_eq_u32 s16, 0
	s_wait_xcnt 0x0
	v_dual_cndmask_b32 v43, v5, v41 :: v_dual_cndmask_b32 v42, v4, v40
	s_cselect_b32 s13, -1, 0
	s_and_b32 s14, exec_lo, s44
	s_mov_b64 s[16:17], 1
	s_mov_b32 s44, 0
	v_add_nc_u64_e32 v[44:45], 32, v[42:43]
	s_wait_loadcnt_dscnt 0x0
	flat_store_b8 v[42:43], v103 th:TH_STORE_NT
	v_dual_cndmask_b32 v41, v41, v45 :: v_dual_cndmask_b32 v40, v40, v44
	v_dual_cndmask_b32 v5, v5, v45, s13 :: v_dual_cndmask_b32 v4, v4, v44, s13
	s_mov_b32 vcc_lo, s14
	s_cbranch_vccnz .LBB4_179
; %bb.180:                              ;   in Loop: Header=BB4_178 Depth=3
	v_sub_nc_u32_e32 v113, v113, v57
	s_delay_alu instid0(VALU_DEP_2)
	v_add_nc_u64_e32 v[4:5], v[4:5], v[70:71]
	v_add_nc_u64_e32 v[40:41], v[40:41], v[70:71]
	s_wait_xcnt 0x1
	v_add_nc_u64_e32 v[2:3], v[84:85], v[2:3]
	v_cmp_gt_i32_e32 vcc_lo, 1, v113
	s_or_b32 s43, vcc_lo, s43
	s_wait_xcnt 0x0
	s_and_not1_b32 exec_lo, exec_lo, s43
	s_cbranch_execnz .LBB4_178
.LBB4_181:                              ;   in Loop: Header=BB4_78 Depth=2
	s_or_b32 exec_lo, exec_lo, s15
	s_mov_b32 s13, 0
.LBB4_182:                              ;   in Loop: Header=BB4_78 Depth=2
	s_delay_alu instid0(SALU_CYCLE_1)
	s_and_b32 vcc_lo, exec_lo, s13
	s_cbranch_vccz .LBB4_211
; %bb.183:                              ;   in Loop: Header=BB4_78 Depth=2
	s_mov_b32 s13, -1
	s_and_saveexec_b32 s14, s6
	s_cbranch_execz .LBB4_185
; %bb.184:                              ;   in Loop: Header=BB4_78 Depth=2
	ds_load_b32 v2, v0 offset:720
	s_wait_dscnt 0x0
	v_and_b32_e32 v2, 15, v2
	s_delay_alu instid0(VALU_DEP_1)
	v_cmp_eq_u32_e32 vcc_lo, 0, v2
	s_or_not1_b32 s13, vcc_lo, exec_lo
.LBB4_185:                              ;   in Loop: Header=BB4_78 Depth=2
	s_or_b32 exec_lo, exec_lo, s14
	s_and_saveexec_b32 s14, s6
	s_cbranch_execz .LBB4_187
; %bb.186:                              ;   in Loop: Header=BB4_78 Depth=2
	ds_load_b32 v2, v0 offset:784
	s_wait_dscnt 0x0
	v_and_b32_e32 v2, 15, v2
	s_delay_alu instid0(VALU_DEP_1) | instskip(SKIP_3) | instid1(SALU_CYCLE_1)
	v_cmp_eq_u32_e32 vcc_lo, 0, v2
	s_and_b32 s15, s13, vcc_lo
	s_and_not1_b32 s13, s13, exec_lo
	s_and_b32 s15, s15, exec_lo
	s_or_b32 s13, s13, s15
.LBB4_187:                              ;   in Loop: Header=BB4_78 Depth=2
	s_or_b32 exec_lo, exec_lo, s14
	s_xor_b32 s13, s13, -1
	v_dual_mov_b32 v4, 0 :: v_dual_mov_b32 v5, v48
	v_cndmask_b32_e64 v2, 0, 1, s13
	v_mov_b32_e32 v103, v0
	s_mov_b32 s15, -1
	s_delay_alu instid0(VALU_DEP_2)
	v_cmp_ne_u32_e32 vcc_lo, 0, v2
	v_mov_b32_e32 v2, v61
	s_cbranch_vccz .LBB4_189
; %bb.188:                              ;   in Loop: Header=BB4_78 Depth=2
	s_and_saveexec_b32 s13, s15
	s_cbranch_execnz .LBB4_202
	s_branch .LBB4_210
.LBB4_189:                              ;   in Loop: Header=BB4_78 Depth=2
	v_ashrrev_i32_e32 v2, 31, v48
	s_mov_b32 s13, exec_lo
	s_delay_alu instid0(VALU_DEP_1) | instskip(NEXT) | instid1(VALU_DEP_1)
	v_lshrrev_b32_e32 v2, 22, v2
	v_add_nc_u32_e32 v2, v48, v2
	s_delay_alu instid0(VALU_DEP_1) | instskip(NEXT) | instid1(VALU_DEP_1)
	v_ashrrev_i32_e32 v4, 10, v2
	v_sub_nc_u32_e32 v40, v4, v61
	s_delay_alu instid0(VALU_DEP_1)
	v_cmpx_lt_i32_e32 0, v40
	s_cbranch_execz .LBB4_193
; %bb.190:                              ;   in Loop: Header=BB4_78 Depth=2
	v_mov_b64_e32 v[2:3], v[96:97]
	s_mov_b32 s14, 0
.LBB4_191:                              ;   Parent Loop BB4_73 Depth=1
                                        ;     Parent Loop BB4_78 Depth=2
                                        ; =>    This Inner Loop Header: Depth=3
	s_delay_alu instid0(VALU_DEP_1)
	v_add_nc_u64_e32 v[46:47], v[116:117], v[2:3]
	v_sub_nc_u32_e32 v40, v40, v50
	s_clause 0x1
	global_load_b128 v[42:45], v[46:47], off th:TH_LOAD_NT
	global_load_b128 v[74:77], v[46:47], off offset:512 th:TH_LOAD_NT
	s_wait_xcnt 0x0
	v_add_nc_u64_e32 v[46:47], v[118:119], v[2:3]
	v_cmp_gt_i32_e32 vcc_lo, 1, v40
	v_add_nc_u64_e32 v[2:3], v[2:3], v[80:81]
	s_wait_loadcnt 0x1
	global_store_b128 v[46:47], v[42:45], off th:TH_STORE_NT
	s_wait_loadcnt 0x0
	global_store_b128 v[46:47], v[74:77], off offset:512 th:TH_STORE_NT
	s_or_b32 s14, vcc_lo, s14
	s_wait_xcnt 0x0
	s_and_not1_b32 exec_lo, exec_lo, s14
	s_cbranch_execnz .LBB4_191
; %bb.192:                              ;   in Loop: Header=BB4_78 Depth=2
	s_or_b32 exec_lo, exec_lo, s14
.LBB4_193:                              ;   in Loop: Header=BB4_78 Depth=2
	s_delay_alu instid0(SALU_CYCLE_1) | instskip(SKIP_3) | instid1(VALU_DEP_1)
	s_or_b32 exec_lo, exec_lo, s13
	v_dual_mov_b32 v4, 0 :: v_dual_lshlrev_b32 v113, 10, v4
	s_mov_b32 s15, 0
	s_mov_b32 s14, exec_lo
                                        ; implicit-def: $vgpr5
                                        ; implicit-def: $vgpr103
                                        ; implicit-def: $vgpr2
	v_cmpx_ne_u32_e64 v48, v113
	s_cbranch_execz .LBB4_201
; %bb.194:                              ;   in Loop: Header=BB4_78 Depth=2
	v_dual_lshlrev_b32 v2, 5, v40 :: v_dual_sub_nc_u32 v4, v48, v113
	s_mov_b32 s15, exec_lo
	s_delay_alu instid0(VALU_DEP_1) | instskip(NEXT) | instid1(VALU_DEP_1)
	v_dual_sub_nc_u32 v2, v62, v2 :: v_dual_ashrrev_i32 v5, 31, v4
	v_dual_ashrrev_i32 v3, 31, v2 :: v_dual_lshrrev_b32 v5, 23, v5
	s_delay_alu instid0(VALU_DEP_1) | instskip(NEXT) | instid1(VALU_DEP_1)
	v_lshrrev_b32_e32 v3, 27, v3
	v_add_nc_u32_e32 v3, v2, v3
	s_delay_alu instid0(VALU_DEP_1) | instskip(NEXT) | instid1(VALU_DEP_1)
	v_and_b32_e32 v103, 0xffffffe0, v3
	v_dual_add_nc_u32 v5, v4, v5 :: v_dual_sub_nc_u32 v41, v2, v103
	s_delay_alu instid0(VALU_DEP_1) | instskip(SKIP_1) | instid1(VALU_DEP_2)
	v_and_b32_e32 v40, 0xfffffe00, v5
	v_dual_ashrrev_i32 v3, 5, v3 :: v_dual_ashrrev_i32 v5, 9, v5
	v_dual_lshlrev_b32 v2, 4, v41 :: v_dual_sub_nc_u32 v42, v4, v40
	s_delay_alu instid0(VALU_DEP_1) | instskip(NEXT) | instid1(VALU_DEP_2)
	v_lshl_add_u32 v2, v3, 9, v2
	v_cmp_lt_i32_e32 vcc_lo, 15, v42
	s_delay_alu instid0(VALU_DEP_4) | instskip(NEXT) | instid1(VALU_DEP_1)
	v_add_co_ci_u32_e64 v5, null, 0, v5, vcc_lo
	v_dual_sub_nc_u32 v4, v4, v2 :: v_dual_sub_nc_u32 v43, v5, v3
	s_delay_alu instid0(VALU_DEP_1)
	v_cmpx_lt_i32_e32 15, v4
	s_cbranch_execz .LBB4_198
; %bb.195:                              ;   in Loop: Header=BB4_78 Depth=2
	v_add_nc_u32_e32 v2, v2, v113
	s_mov_b32 s16, 0
	s_delay_alu instid0(VALU_DEP_1)
	v_ashrrev_i32_e32 v3, 31, v2
.LBB4_196:                              ;   Parent Loop BB4_73 Depth=1
                                        ;     Parent Loop BB4_78 Depth=2
                                        ; =>    This Inner Loop Header: Depth=3
	s_delay_alu instid0(VALU_DEP_1) | instskip(SKIP_3) | instid1(VALU_DEP_3)
	v_add_nc_u64_e32 v[44:45], v[116:117], v[2:3]
	v_dual_sub_nc_u32 v4, v4, v60 :: v_dual_sub_nc_u32 v43, v43, v50
	v_add_nc_u64_e32 v[74:75], v[118:119], v[2:3]
	v_add_nc_u64_e32 v[2:3], v[2:3], v[86:87]
	v_cmp_gt_i32_e64 s13, 16, v4
	global_load_b128 v[44:47], v[44:45], off th:TH_LOAD_NT
	s_or_b32 s16, s13, s16
	s_wait_loadcnt 0x0
	global_store_b128 v[74:75], v[44:47], off th:TH_STORE_NT
	s_wait_xcnt 0x0
	s_and_not1_b32 exec_lo, exec_lo, s16
	s_cbranch_execnz .LBB4_196
; %bb.197:                              ;   in Loop: Header=BB4_78 Depth=2
	s_or_b32 exec_lo, exec_lo, s16
.LBB4_198:                              ;   in Loop: Header=BB4_78 Depth=2
	s_delay_alu instid0(SALU_CYCLE_1) | instskip(SKIP_3) | instid1(VALU_DEP_1)
	s_or_b32 exec_lo, exec_lo, s15
	v_dual_mov_b32 v4, 0 :: v_dual_bitop2_b32 v3, 15, v48 bitop3:0x40
	s_mov_b32 s15, 0
	s_mov_b32 s16, exec_lo
                                        ; implicit-def: $vgpr103
                                        ; implicit-def: $vgpr2
	v_cndmask_b32_e32 v5, v42, v3, vcc_lo
	s_delay_alu instid0(VALU_DEP_1)
	v_cmpx_ne_u32_e32 0, v5
	s_cbranch_execz .LBB4_200
; %bb.199:                              ;   in Loop: Header=BB4_78 Depth=2
	v_cmp_lt_i32_e64 s13, 0, v43
	s_mov_b32 s15, exec_lo
	v_dual_sub_nc_u32 v3, v42, v3 :: v_dual_cndmask_b32 v2, 0, v50, s13
	s_delay_alu instid0(VALU_DEP_1) | instskip(NEXT) | instid1(VALU_DEP_2)
	v_cndmask_b32_e32 v3, 0, v3, vcc_lo
	v_sub_nc_u32_e32 v2, v2, v43
	s_delay_alu instid0(VALU_DEP_2) | instskip(NEXT) | instid1(VALU_DEP_2)
	v_add3_u32 v4, v40, v113, v3
	v_lshl_add_u32 v103, v2, 5, v41
	s_delay_alu instid0(VALU_DEP_1) | instskip(NEXT) | instid1(VALU_DEP_1)
	v_ashrrev_i32_e32 v2, 31, v103
	v_lshrrev_b32_e32 v2, 27, v2
	s_delay_alu instid0(VALU_DEP_1) | instskip(NEXT) | instid1(VALU_DEP_1)
	v_add_nc_u32_e32 v2, v103, v2
	v_ashrrev_i32_e32 v2, 5, v2
.LBB4_200:                              ;   in Loop: Header=BB4_78 Depth=2
	s_or_b32 exec_lo, exec_lo, s16
	s_delay_alu instid0(SALU_CYCLE_1)
	s_and_b32 s15, s15, exec_lo
.LBB4_201:                              ;   in Loop: Header=BB4_78 Depth=2
	s_or_b32 exec_lo, exec_lo, s14
	s_and_saveexec_b32 s13, s15
	s_cbranch_execz .LBB4_210
.LBB4_202:                              ;   in Loop: Header=BB4_78 Depth=2
	v_ashrrev_i32_e32 v3, 31, v5
	s_mov_b32 s14, exec_lo
	s_delay_alu instid0(VALU_DEP_1) | instskip(NEXT) | instid1(VALU_DEP_1)
	v_lshrrev_b32_e32 v3, 24, v3
	v_add_nc_u32_e32 v3, v5, v3
	s_delay_alu instid0(VALU_DEP_1) | instskip(NEXT) | instid1(VALU_DEP_1)
	v_ashrrev_i32_e32 v40, 8, v3
	v_sub_nc_u32_e32 v113, v40, v2
	s_delay_alu instid0(VALU_DEP_1)
	v_cmpx_lt_i32_e32 0, v113
	s_cbranch_execz .LBB4_206
; %bb.203:                              ;   in Loop: Header=BB4_78 Depth=2
	v_dual_ashrrev_i32 v3, 31, v103 :: v_dual_lshlrev_b32 v2, 8, v2
	s_mov_b32 s15, 0
	s_delay_alu instid0(VALU_DEP_1) | instskip(NEXT) | instid1(VALU_DEP_1)
	v_lshrrev_b32_e32 v3, 27, v3
	v_add_nc_u32_e32 v3, v103, v3
	s_delay_alu instid0(VALU_DEP_1) | instskip(NEXT) | instid1(VALU_DEP_1)
	v_and_b32_e32 v3, 0xffffffe0, v3
	v_sub_nc_u32_e32 v3, v103, v3
	s_delay_alu instid0(VALU_DEP_1) | instskip(NEXT) | instid1(VALU_DEP_1)
	v_add3_u32 v2, v4, v3, v2
	v_ashrrev_i32_e32 v3, 31, v2
.LBB4_204:                              ;   Parent Loop BB4_73 Depth=1
                                        ;     Parent Loop BB4_78 Depth=2
                                        ; =>    This Inner Loop Header: Depth=3
	s_delay_alu instid0(VALU_DEP_1)
	v_add_nc_u64_e32 v[42:43], v[2:3], v[116:117]
	v_sub_nc_u32_e32 v113, v113, v50
	v_add_nc_u64_e32 v[116:117], v[116:117], v[68:69]
	s_clause 0x7
	flat_load_u8 v41, v[42:43] th:TH_LOAD_NT
	flat_load_u8 v44, v[42:43] offset:32 th:TH_LOAD_NT
	flat_load_u8 v45, v[42:43] offset:64 th:TH_LOAD_NT
	;; [unrolled: 1-line block ×7, first 2 shown]
	s_wait_xcnt 0x0
	v_add_nc_u64_e32 v[42:43], v[2:3], v[118:119]
	v_add_nc_u64_e32 v[118:119], v[118:119], v[68:69]
	v_cmp_gt_i32_e32 vcc_lo, 1, v113
	s_wait_loadcnt_dscnt 0x707
	flat_store_b8 v[42:43], v41 th:TH_STORE_NT
	s_wait_loadcnt_dscnt 0x607
	flat_store_b8 v[42:43], v44 offset:32 th:TH_STORE_NT
	s_wait_loadcnt_dscnt 0x507
	flat_store_b8 v[42:43], v45 offset:64 th:TH_STORE_NT
	;; [unrolled: 2-line block ×7, first 2 shown]
	s_or_b32 s15, vcc_lo, s15
	s_wait_xcnt 0x0
	s_and_not1_b32 exec_lo, exec_lo, s15
	s_cbranch_execnz .LBB4_204
; %bb.205:                              ;   in Loop: Header=BB4_78 Depth=2
	s_or_b32 exec_lo, exec_lo, s15
.LBB4_206:                              ;   in Loop: Header=BB4_78 Depth=2
	s_delay_alu instid0(SALU_CYCLE_1) | instskip(SKIP_1) | instid1(VALU_DEP_1)
	s_or_b32 exec_lo, exec_lo, s14
	v_lshlrev_b32_e32 v2, 8, v40
	v_cmp_ne_u32_e32 vcc_lo, v5, v2
	s_and_b32 exec_lo, exec_lo, vcc_lo
	s_cbranch_execz .LBB4_210
; %bb.207:                              ;   in Loop: Header=BB4_78 Depth=2
	v_ashrrev_i32_e32 v3, 31, v103
	s_delay_alu instid0(VALU_DEP_1) | instskip(NEXT) | instid1(VALU_DEP_1)
	v_lshrrev_b32_e32 v3, 27, v3
	v_add_nc_u32_e32 v3, v103, v3
	s_delay_alu instid0(VALU_DEP_1) | instskip(NEXT) | instid1(VALU_DEP_1)
	v_and_b32_e32 v3, 0xffffffe0, v3
	v_dual_sub_nc_u32 v3, v103, v3 :: v_dual_lshlrev_b32 v103, 5, v113
	s_delay_alu instid0(VALU_DEP_1) | instskip(NEXT) | instid1(VALU_DEP_1)
	v_sub_nc_u32_e32 v3, v3, v103
	v_add_nc_u32_e32 v113, v2, v3
	s_delay_alu instid0(VALU_DEP_1) | instskip(NEXT) | instid1(VALU_DEP_1)
	v_sub_nc_u32_e32 v103, v5, v113
	v_cmp_lt_i32_e32 vcc_lo, 0, v103
	s_and_b32 exec_lo, exec_lo, vcc_lo
	s_cbranch_execz .LBB4_210
; %bb.208:                              ;   in Loop: Header=BB4_78 Depth=2
	s_trap 2
	ds_load_b64 v[2:3], v0
	v_add_nc_u32_e32 v4, v113, v4
	s_mov_b32 s14, 0
	s_delay_alu instid0(VALU_DEP_1)
	v_ashrrev_i32_e32 v5, 31, v4
.LBB4_209:                              ;   Parent Loop BB4_73 Depth=1
                                        ;     Parent Loop BB4_78 Depth=2
                                        ; =>    This Inner Loop Header: Depth=3
	s_wait_dscnt 0x0
	s_delay_alu instid0(VALU_DEP_1) | instskip(SKIP_2) | instid1(VALU_DEP_2)
	v_add_nc_u64_e32 v[116:117], v[2:3], v[4:5]
	v_sub_nc_u32_e32 v103, v103, v57
	v_add_nc_u64_e32 v[4:5], v[4:5], v[84:85]
	v_cmp_gt_i32_e32 vcc_lo, 1, v103
	flat_load_u8 v113, v[116:117] th:TH_LOAD_NT
	s_or_b32 s14, vcc_lo, s14
	s_wait_loadcnt_dscnt 0x0
	flat_store_b8 v[116:117], v113 th:TH_STORE_NT
	s_wait_xcnt 0x0
	s_and_not1_b32 exec_lo, exec_lo, s14
	s_cbranch_execnz .LBB4_209
.LBB4_210:                              ;   in Loop: Header=BB4_78 Depth=2
	s_or_b32 exec_lo, exec_lo, s13
.LBB4_211:                              ;   in Loop: Header=BB4_78 Depth=2
	v_cmp_lt_i32_e64 s13, 0, v48
	s_and_saveexec_b32 s14, s1
	s_cbranch_execz .LBB4_150
.LBB4_212:                              ;   in Loop: Header=BB4_78 Depth=2
	s_and_saveexec_b32 s15, s2
	s_delay_alu instid0(SALU_CYCLE_1)
	s_xor_b32 s15, exec_lo, s15
	s_cbranch_execz .LBB4_227
; %bb.213:                              ;   in Loop: Header=BB4_78 Depth=2
	s_and_saveexec_b32 s16, s5
	s_cbranch_execz .LBB4_226
; %bb.214:                              ;   in Loop: Header=BB4_78 Depth=2
	s_mov_b32 s43, exec_lo
	s_mov_b32 s17, exec_lo
	v_mbcnt_lo_u32_b32 v2, s43, 0
	global_wb scope:SCOPE_DEV
	s_wait_storecnt 0x0
	s_wait_loadcnt_dscnt 0x0
	global_inv scope:SCOPE_DEV
	v_cmpx_eq_u32_e32 0, v2
	s_cbranch_execz .LBB4_216
; %bb.215:                              ;   in Loop: Header=BB4_78 Depth=2
	s_bcnt1_i32_b32 s43, s43
	s_delay_alu instid0(SALU_CYCLE_1)
	v_mov_b32_e32 v48, s43
	s_wait_loadcnt 0x0
	ds_add_u64 v0, v[48:49]
	s_trap 2
.LBB4_216:                              ;   in Loop: Header=BB4_78 Depth=2
	s_or_b32 exec_lo, exec_lo, s17
	s_trap 2
	ds_load_b64 v[2:3], v0
	s_wait_dscnt 0x0
	v_add_nc_u64_e32 v[14:15], v[14:15], v[50:51]
	s_mov_b32 s17, exec_lo
	s_delay_alu instid0(VALU_DEP_1)
	v_cmpx_lt_u64_e64 v[2:3], v[14:15]
	s_cbranch_execz .LBB4_225
; %bb.217:                              ;   in Loop: Header=BB4_78 Depth=2
	s_mov_b32 s43, 0
	s_mov_b32 s46, 0
                                        ; implicit-def: $sgpr44
                                        ; implicit-def: $sgpr45
	s_branch .LBB4_219
.LBB4_218:                              ;   in Loop: Header=BB4_219 Depth=3
	s_or_b32 exec_lo, exec_lo, s56
	s_delay_alu instid0(SALU_CYCLE_1) | instskip(NEXT) | instid1(SALU_CYCLE_1)
	s_and_b32 s47, exec_lo, s57
	s_or_b32 s43, s47, s43
	s_and_not1_b32 s44, s44, exec_lo
	s_and_b32 s47, s45, exec_lo
	s_delay_alu instid0(SALU_CYCLE_1)
	s_or_b32 s44, s44, s47
	s_and_not1_b32 exec_lo, exec_lo, s43
	s_cbranch_execz .LBB4_223
.LBB4_219:                              ;   Parent Loop BB4_73 Depth=1
                                        ;     Parent Loop BB4_78 Depth=2
                                        ; =>    This Inner Loop Header: Depth=3
	s_add_co_i32 s46, s46, 1
	s_delay_alu instid0(SALU_CYCLE_1) | instskip(SKIP_1) | instid1(SALU_CYCLE_1)
	s_cmp_lg_u32 s46, 0x2710
	s_cselect_b32 s47, -1, 0
	s_and_b32 vcc_lo, exec_lo, s47
	s_cbranch_vccz .LBB4_221
; %bb.220:                              ;   in Loop: Header=BB4_219 Depth=3
	s_mov_b32 s57, -1
	s_or_b32 s45, s45, exec_lo
	s_and_saveexec_b32 s56, s47
	s_cbranch_execz .LBB4_218
	s_branch .LBB4_222
.LBB4_221:                              ;   in Loop: Header=BB4_219 Depth=3
	s_trap 2
	ds_load_b64 v[2:3], v0
	s_and_not1_b32 s47, s47, exec_lo
	s_mov_b32 s46, 0
	s_wait_loadcnt_dscnt 0x0
	flat_load_b32 v2, v[2:3] scope:SCOPE_SYS
	s_wait_loadcnt_dscnt 0x0
	global_inv scope:SCOPE_SYS
	v_cmp_eq_u32_e32 vcc_lo, 0, v2
	s_and_b32 s56, vcc_lo, exec_lo
	s_delay_alu instid0(SALU_CYCLE_1)
	s_or_b32 s47, s47, s56
	s_mov_b32 s57, -1
	s_or_b32 s45, s45, exec_lo
	s_and_saveexec_b32 s56, s47
	s_cbranch_execz .LBB4_218
.LBB4_222:                              ;   in Loop: Header=BB4_219 Depth=3
	s_sleep 1
	s_trap 2
	ds_load_b64 v[2:3], v0
	s_wait_dscnt 0x0
	s_and_not1_b32 s45, s45, exec_lo
	v_cmp_ge_u64_e32 vcc_lo, v[2:3], v[14:15]
	s_or_not1_b32 s57, vcc_lo, exec_lo
	s_branch .LBB4_218
.LBB4_223:                              ;   in Loop: Header=BB4_78 Depth=2
	s_or_b32 exec_lo, exec_lo, s43
	s_and_saveexec_b32 s43, s44
	s_delay_alu instid0(SALU_CYCLE_1)
	s_xor_b32 s43, exec_lo, s43
	s_cbranch_execz .LBB4_225
; %bb.224:                              ;   in Loop: Header=BB4_78 Depth=2
	ds_store_b32 v0, v58
	s_trap 2
.LBB4_225:                              ;   in Loop: Header=BB4_78 Depth=2
	s_or_b32 exec_lo, exec_lo, s17
	;;#ASMSTART
	s_wakeup
	;;#ASMEND
.LBB4_226:                              ;   in Loop: Header=BB4_78 Depth=2
	s_or_b32 exec_lo, exec_lo, s16
.LBB4_227:                              ;   in Loop: Header=BB4_78 Depth=2
	s_and_not1_saveexec_b32 s15, s15
	s_cbranch_execz .LBB4_229
; %bb.228:                              ;   in Loop: Header=BB4_78 Depth=2
	global_wb scope:SCOPE_DEV
	s_wait_storecnt 0x0
	s_wait_loadcnt_dscnt 0x0
	global_inv scope:SCOPE_DEV
	s_barrier_signal -1
	s_barrier_wait -1
.LBB4_229:                              ;   in Loop: Header=BB4_78 Depth=2
	s_or_b32 exec_lo, exec_lo, s15
	s_delay_alu instid0(SALU_CYCLE_1) | instskip(SKIP_1) | instid1(SALU_CYCLE_1)
	s_or_b32 exec_lo, exec_lo, s14
                                        ; implicit-def: $vgpr2
	s_and_saveexec_b32 s14, s7
	s_xor_b32 s14, exec_lo, s14
	s_cbranch_execnz .LBB4_151
.LBB4_230:                              ;   in Loop: Header=BB4_78 Depth=2
	s_and_not1_saveexec_b32 s13, s14
	s_cbranch_execz .LBB4_249
.LBB4_231:                              ;   in Loop: Header=BB4_78 Depth=2
	s_and_saveexec_b32 s14, s2
	s_delay_alu instid0(SALU_CYCLE_1)
	s_xor_b32 s14, exec_lo, s14
	s_cbranch_execz .LBB4_246
; %bb.232:                              ;   in Loop: Header=BB4_78 Depth=2
	s_and_saveexec_b32 s15, s5
	s_cbranch_execz .LBB4_245
; %bb.233:                              ;   in Loop: Header=BB4_78 Depth=2
	s_mov_b32 s17, exec_lo
	s_mov_b32 s16, exec_lo
	v_mbcnt_lo_u32_b32 v2, s17, 0
	;;#ASMSTART
	s_waitcnt lgkmcnt(0) vmcnt(0)
	;;#ASMEND
	s_delay_alu instid0(VALU_DEP_1)
	v_cmpx_eq_u32_e32 0, v2
	s_cbranch_execz .LBB4_235
; %bb.234:                              ;   in Loop: Header=BB4_78 Depth=2
	s_bcnt1_i32_b32 s17, s17
	s_delay_alu instid0(SALU_CYCLE_1)
	v_mov_b32_e32 v48, s17
	s_wait_storecnt 0x0
	s_wait_loadcnt_dscnt 0x0
	ds_add_u64 v0, v[48:49]
	s_trap 2
.LBB4_235:                              ;   in Loop: Header=BB4_78 Depth=2
	s_or_b32 exec_lo, exec_lo, s16
	s_trap 2
	ds_load_b64 v[2:3], v0
	s_wait_dscnt 0x0
	v_add_nc_u64_e32 v[14:15], v[14:15], v[50:51]
	s_mov_b32 s16, exec_lo
	s_delay_alu instid0(VALU_DEP_1)
	v_cmpx_lt_u64_e64 v[2:3], v[14:15]
	s_cbranch_execz .LBB4_244
; %bb.236:                              ;   in Loop: Header=BB4_78 Depth=2
	s_mov_b32 s17, 0
	s_mov_b32 s45, 0
                                        ; implicit-def: $sgpr43
                                        ; implicit-def: $sgpr44
	s_branch .LBB4_238
.LBB4_237:                              ;   in Loop: Header=BB4_238 Depth=3
	s_or_b32 exec_lo, exec_lo, s47
	s_delay_alu instid0(SALU_CYCLE_1) | instskip(NEXT) | instid1(SALU_CYCLE_1)
	s_and_b32 s46, exec_lo, s56
	s_or_b32 s17, s46, s17
	s_and_not1_b32 s43, s43, exec_lo
	s_and_b32 s46, s44, exec_lo
	s_delay_alu instid0(SALU_CYCLE_1)
	s_or_b32 s43, s43, s46
	s_and_not1_b32 exec_lo, exec_lo, s17
	s_cbranch_execz .LBB4_242
.LBB4_238:                              ;   Parent Loop BB4_73 Depth=1
                                        ;     Parent Loop BB4_78 Depth=2
                                        ; =>    This Inner Loop Header: Depth=3
	s_add_co_i32 s45, s45, 1
	s_delay_alu instid0(SALU_CYCLE_1) | instskip(SKIP_1) | instid1(SALU_CYCLE_1)
	s_cmp_lg_u32 s45, 0x2710
	s_cselect_b32 s46, -1, 0
	s_and_b32 vcc_lo, exec_lo, s46
	s_cbranch_vccz .LBB4_240
; %bb.239:                              ;   in Loop: Header=BB4_238 Depth=3
	s_mov_b32 s56, -1
	s_or_b32 s44, s44, exec_lo
	s_and_saveexec_b32 s47, s46
	s_cbranch_execz .LBB4_237
	s_branch .LBB4_241
.LBB4_240:                              ;   in Loop: Header=BB4_238 Depth=3
	s_trap 2
	ds_load_b64 v[2:3], v0
	s_and_not1_b32 s46, s46, exec_lo
	s_mov_b32 s45, 0
	s_wait_storecnt 0x0
	s_wait_loadcnt_dscnt 0x0
	flat_load_b32 v2, v[2:3] scope:SCOPE_SYS
	s_wait_loadcnt_dscnt 0x0
	global_inv scope:SCOPE_SYS
	v_cmp_eq_u32_e32 vcc_lo, 0, v2
	s_and_b32 s47, vcc_lo, exec_lo
	s_delay_alu instid0(SALU_CYCLE_1)
	s_or_b32 s46, s46, s47
	s_mov_b32 s56, -1
	s_or_b32 s44, s44, exec_lo
	s_and_saveexec_b32 s47, s46
	s_cbranch_execz .LBB4_237
.LBB4_241:                              ;   in Loop: Header=BB4_238 Depth=3
	s_sleep 1
	s_trap 2
	ds_load_b64 v[2:3], v0
	s_wait_dscnt 0x0
	s_and_not1_b32 s44, s44, exec_lo
	v_cmp_ge_u64_e32 vcc_lo, v[2:3], v[14:15]
	s_or_not1_b32 s56, vcc_lo, exec_lo
	s_branch .LBB4_237
.LBB4_242:                              ;   in Loop: Header=BB4_78 Depth=2
	s_or_b32 exec_lo, exec_lo, s17
	s_and_saveexec_b32 s17, s43
	s_delay_alu instid0(SALU_CYCLE_1)
	s_xor_b32 s17, exec_lo, s17
	s_cbranch_execz .LBB4_244
; %bb.243:                              ;   in Loop: Header=BB4_78 Depth=2
	ds_store_b32 v0, v58
	s_trap 2
.LBB4_244:                              ;   in Loop: Header=BB4_78 Depth=2
	s_or_b32 exec_lo, exec_lo, s16
	;;#ASMSTART
	s_wakeup
	;;#ASMEND
.LBB4_245:                              ;   in Loop: Header=BB4_78 Depth=2
	s_or_b32 exec_lo, exec_lo, s15
.LBB4_246:                              ;   in Loop: Header=BB4_78 Depth=2
	s_and_not1_saveexec_b32 s14, s14
	s_cbranch_execz .LBB4_248
; %bb.247:                              ;   in Loop: Header=BB4_78 Depth=2
	;;#ASMSTART
	s_waitcnt lgkmcnt(0) vmcnt(0)
	;;#ASMEND
	s_barrier_signal -1
	s_barrier_wait -1
.LBB4_248:                              ;   in Loop: Header=BB4_78 Depth=2
	s_or_b32 exec_lo, exec_lo, s14
	v_and_b32_e32 v2, 16, v30
.LBB4_249:                              ;   in Loop: Header=BB4_78 Depth=2
	s_or_b32 exec_lo, exec_lo, s13
	s_delay_alu instid0(SALU_CYCLE_1) | instskip(NEXT) | instid1(VALU_DEP_1)
	s_mov_b32 s13, exec_lo
	v_cmpx_ne_u32_e32 0, v2
	s_cbranch_execz .LBB4_77
; %bb.250:                              ;   in Loop: Header=BB4_78 Depth=2
	s_and_saveexec_b32 s14, s4
	s_cbranch_execz .LBB4_76
; %bb.251:                              ;   in Loop: Header=BB4_78 Depth=2
	global_wb scope:SCOPE_SYS
	s_wait_storecnt 0x0
	s_wait_loadcnt_dscnt 0x0
	flat_store_b32 v[34:35], v58 scope:SCOPE_SYS
	s_branch .LBB4_76
.LBB4_252:                              ;   in Loop: Header=BB4_73 Depth=1
	s_and_not1_saveexec_b32 s14, s28
	s_cbranch_execz .LBB4_540
.LBB4_253:                              ;   in Loop: Header=BB4_73 Depth=1
	v_dual_mov_b32 v3, 0 :: v_dual_mov_b32 v4, v73
	v_mov_b32_e32 v2, 0
	s_and_saveexec_b32 s15, s12
	s_cbranch_execz .LBB4_467
; %bb.254:                              ;   in Loop: Header=BB4_73 Depth=1
	v_dual_mov_b32 v2, 0 :: v_dual_mov_b32 v4, v73
	s_mov_b32 s28, 1
	s_mov_b32 s17, -1
	s_mov_b32 s16, 0
	s_branch .LBB4_257
.LBB4_255:                              ;   in Loop: Header=BB4_257 Depth=2
	s_wait_xcnt 0x0
	s_or_b32 exec_lo, exec_lo, s29
	v_add_nc_u64_e32 v[98:99], 2, v[98:99]
	global_wb scope:SCOPE_SYS
	s_wait_storecnt 0x0
	s_wait_loadcnt_dscnt 0x0
	flat_store_b64 v[26:27], v[98:99] scope:SCOPE_SYS
.LBB4_256:                              ;   in Loop: Header=BB4_257 Depth=2
	s_wait_xcnt 0x0
	s_or_b32 exec_lo, exec_lo, s13
	v_dual_mov_b32 v3, s28 :: v_dual_add_nc_u32 v2, v4, v2
	s_xor_b32 s13, s17, -1
	s_mov_b32 s17, 0
	s_mov_b32 s28, 2
	s_delay_alu instid0(VALU_DEP_1) | instskip(SKIP_1) | instid1(SALU_CYCLE_1)
	v_cmp_ge_i32_e32 vcc_lo, v2, v72
	s_or_b32 s13, s13, vcc_lo
	s_and_b32 s13, exec_lo, s13
	s_delay_alu instid0(SALU_CYCLE_1) | instskip(NEXT) | instid1(SALU_CYCLE_1)
	s_or_b32 s16, s13, s16
	s_and_not1_b32 exec_lo, exec_lo, s16
	s_cbranch_execz .LBB4_466
.LBB4_257:                              ;   Parent Loop BB4_73 Depth=1
                                        ; =>  This Loop Header: Depth=2
                                        ;       Child Loop BB4_265 Depth 3
                                        ;       Child Loop BB4_289 Depth 3
	;; [unrolled: 1-line block ×9, first 2 shown]
	s_and_saveexec_b32 s13, s0
	s_cbranch_execz .LBB4_259
; %bb.258:                              ;   in Loop: Header=BB4_257 Depth=2
	s_trap 2
	ds_load_b64 v[102:103], v0
	v_ashrrev_i32_e32 v3, 31, v2
	s_wait_dscnt 0x0
	v_add_nc_u64_e32 v[102:103], v[102:103], v[100:101]
	s_delay_alu instid0(VALU_DEP_1)
	v_add_nc_u64_e32 v[102:103], v[102:103], v[2:3]
	ds_store_b64 v0, v[102:103]
	ds_store_b64 v0, v[54:55]
.LBB4_259:                              ;   in Loop: Header=BB4_257 Depth=2
	s_or_b32 exec_lo, exec_lo, s13
	v_sub_nc_u32_e32 v3, v72, v2
	v_and_b32_e32 v5, 8, v30
	s_mov_b32 s29, exec_lo
	s_delay_alu instid0(VALU_DEP_2) | instskip(NEXT) | instid1(VALU_DEP_2)
	v_min_i32_e32 v4, v4, v3
	v_cmpx_ne_u32_e32 0, v5
	s_cbranch_execz .LBB4_281
; %bb.260:                              ;   in Loop: Header=BB4_257 Depth=2
	s_wait_loadcnt_dscnt 0x1
	v_add_nc_u64_e32 v[112:113], 8, v[36:37]
	v_add_nc_u64_e32 v[102:103], 2, v[98:99]
	s_mov_b32 s40, exec_lo
	s_delay_alu instid0(VALU_DEP_1)
	v_cmpx_lt_u64_e64 v[112:113], v[102:103]
	s_cbranch_execz .LBB4_272
; %bb.261:                              ;   in Loop: Header=BB4_257 Depth=2
	v_and_b32_e32 v3, 64, v30
	s_mov_b32 s41, 0
	s_mov_b32 s45, 0
                                        ; implicit-def: $sgpr42
                                        ; implicit-def: $sgpr43
                                        ; implicit-def: $sgpr44
	s_delay_alu instid0(VALU_DEP_1)
	v_cmp_eq_u32_e32 vcc_lo, 0, v3
	s_branch .LBB4_265
.LBB4_262:                              ;   in Loop: Header=BB4_265 Depth=3
	s_wait_loadcnt_dscnt 0x0
	v_add_nc_u64_e32 v[112:113], 8, v[36:37]
	s_or_b32 s56, s56, exec_lo
	s_delay_alu instid0(VALU_DEP_1)
	v_cmp_ge_u64_e64 s13, v[112:113], v[102:103]
	s_or_not1_b32 s47, s13, exec_lo
.LBB4_263:                              ;   in Loop: Header=BB4_265 Depth=3
	s_or_b32 exec_lo, exec_lo, s58
	s_delay_alu instid0(SALU_CYCLE_1)
	s_and_not1_b32 s13, s44, exec_lo
	s_and_b32 s44, s56, exec_lo
	s_and_not1_b32 s43, s43, exec_lo
	s_and_b32 s47, s47, exec_lo
	s_or_b32 s44, s13, s44
	s_or_b32 s43, s43, s47
.LBB4_264:                              ;   in Loop: Header=BB4_265 Depth=3
	s_or_b32 exec_lo, exec_lo, s46
	s_delay_alu instid0(SALU_CYCLE_1) | instskip(NEXT) | instid1(SALU_CYCLE_1)
	s_and_b32 s13, exec_lo, s43
	s_or_b32 s41, s13, s41
	s_and_not1_b32 s13, s42, exec_lo
	s_and_b32 s42, s44, exec_lo
	s_delay_alu instid0(SALU_CYCLE_1)
	s_or_b32 s42, s13, s42
	s_and_not1_b32 exec_lo, exec_lo, s41
	s_cbranch_execz .LBB4_269
.LBB4_265:                              ;   Parent Loop BB4_73 Depth=1
                                        ;     Parent Loop BB4_257 Depth=2
                                        ; =>    This Inner Loop Header: Depth=3
	s_sleep 1
	s_wait_loadcnt_dscnt 0x0
	flat_load_b64 v[36:37], v[26:27] scope:SCOPE_SYS
	s_or_b32 s44, s44, exec_lo
	s_or_b32 s43, s43, exec_lo
                                        ; implicit-def: $vgpr3
	s_wait_xcnt 0x0
	s_and_saveexec_b32 s46, vcc_lo
	s_cbranch_execz .LBB4_264
; %bb.266:                              ;   in Loop: Header=BB4_265 Depth=3
	s_cmp_lt_i32 s45, 0x270f
	s_mov_b32 s47, -1
	s_cselect_b32 s57, -1, 0
	s_cmp_gt_i32 s45, 0x270e
	s_cbranch_scc0 .LBB4_268
; %bb.267:                              ;   in Loop: Header=BB4_265 Depth=3
	s_trap 2
	ds_load_b64 v[112:113], v0
	s_and_not1_b32 s45, s57, exec_lo
	s_mov_b32 s56, 0
	s_wait_storecnt 0x0
	s_wait_loadcnt_dscnt 0x0
	flat_load_b32 v3, v[112:113] scope:SCOPE_SYS
	s_wait_loadcnt_dscnt 0x0
	global_inv scope:SCOPE_SYS
	v_cmp_eq_u32_e64 s13, 0, v3
	s_and_b32 s13, s13, exec_lo
	s_delay_alu instid0(SALU_CYCLE_1)
	s_or_b32 s57, s45, s13
	s_mov_b32 s45, 0
	s_and_saveexec_b32 s58, s57
	s_cbranch_execz .LBB4_263
	s_branch .LBB4_262
.LBB4_268:                              ;   in Loop: Header=BB4_265 Depth=3
	s_add_co_i32 s45, s45, 1
	s_mov_b32 s56, -1
                                        ; implicit-def: $vgpr3
	s_and_saveexec_b32 s58, s57
	s_cbranch_execz .LBB4_263
	s_branch .LBB4_262
.LBB4_269:                              ;   in Loop: Header=BB4_257 Depth=2
	s_or_b32 exec_lo, exec_lo, s41
	s_xor_b32 s13, s42, -1
	s_delay_alu instid0(SALU_CYCLE_1) | instskip(NEXT) | instid1(SALU_CYCLE_1)
	s_and_saveexec_b32 s41, s13
	s_xor_b32 s13, exec_lo, s41
	s_cbranch_execz .LBB4_271
; %bb.270:                              ;   in Loop: Header=BB4_257 Depth=2
	v_or_b32_e32 v30, 64, v30
	s_wait_storecnt 0x0
	s_wait_loadcnt_dscnt 0x0
	ds_store_b32 v0, v3
	s_trap 2
.LBB4_271:                              ;   in Loop: Header=BB4_257 Depth=2
	s_or_b32 exec_lo, exec_lo, s13
.LBB4_272:                              ;   in Loop: Header=BB4_257 Depth=2
	s_delay_alu instid0(SALU_CYCLE_1)
	s_or_b32 exec_lo, exec_lo, s40
	v_and_b32_e32 v3, 0x100, v30
	v_and_b32_e32 v48, 7, v98
	s_mov_b32 s13, -1
	s_mov_b32 s40, exec_lo
	;;#ASMSTART
	s_wakeup
	;;#ASMEND
                                        ; implicit-def: $vgpr98_vgpr99
	v_cmpx_ne_u32_e32 0, v3
	s_cbranch_execz .LBB4_276
; %bb.273:                              ;   in Loop: Header=BB4_257 Depth=2
	v_mad_nc_u64_u32 v[112:113], v48, 24, v[12:13]
	v_ashrrev_i32_e32 v5, 31, v4
	s_mov_b32 s41, exec_lo
                                        ; implicit-def: $vgpr98_vgpr99
	s_clause 0x1
	flat_load_b32 v3, v[112:113]
	flat_store_b64 v[112:113], v[4:5] offset:8
	s_wait_loadcnt_dscnt 0x1
	v_cmp_ne_u32_e32 vcc_lo, 1, v3
	s_wait_xcnt 0x0
	v_cmpx_eq_u32_e32 1, v3
	s_cbranch_execz .LBB4_275
; %bb.274:                              ;   in Loop: Header=BB4_257 Depth=2
	flat_load_b32 v98, v[112:113] offset:4 scope:SCOPE_SYS
	s_wait_loadcnt_dscnt 0x0
	v_ashrrev_i32_e32 v99, 31, v98
.LBB4_275:                              ;   in Loop: Header=BB4_257 Depth=2
	s_wait_xcnt 0x0
	s_or_b32 exec_lo, exec_lo, s41
	s_delay_alu instid0(SALU_CYCLE_1)
	s_or_not1_b32 s13, vcc_lo, exec_lo
.LBB4_276:                              ;   in Loop: Header=BB4_257 Depth=2
	s_or_b32 exec_lo, exec_lo, s40
	s_and_saveexec_b32 s40, s13
; %bb.277:                              ;   in Loop: Header=BB4_257 Depth=2
	v_mul_u64_e32 v[98:99], v[48:49], v[28:29]
; %bb.278:                              ;   in Loop: Header=BB4_257 Depth=2
	s_or_b32 exec_lo, exec_lo, s40
	s_delay_alu instid0(VALU_DEP_1)
	v_add_nc_u64_e32 v[98:99], v[32:33], v[98:99]
	v_and_b32_e32 v3, 0x2000, v30
	s_mov_b32 s13, exec_lo
	ds_store_b64 v0, v[98:99] offset:784
	v_cmpx_ne_u32_e32 0, v3
	s_cbranch_execz .LBB4_280
; %bb.279:                              ;   in Loop: Header=BB4_257 Depth=2
	ds_load_b64 v[98:99], v0 offset:872
	s_wait_dscnt 0x0
	v_add_nc_u64_e32 v[98:99], 1, v[98:99]
	ds_store_b64 v0, v[98:99] offset:872
.LBB4_280:                              ;   in Loop: Header=BB4_257 Depth=2
	s_or_b32 exec_lo, exec_lo, s13
	v_mov_b64_e32 v[98:99], v[102:103]
.LBB4_281:                              ;   in Loop: Header=BB4_257 Depth=2
	s_or_b32 exec_lo, exec_lo, s29
	s_and_saveexec_b32 s13, s1
	s_cbranch_execz .LBB4_300
; %bb.282:                              ;   in Loop: Header=BB4_257 Depth=2
	s_and_saveexec_b32 s29, s2
	s_delay_alu instid0(SALU_CYCLE_1)
	s_xor_b32 s29, exec_lo, s29
	s_cbranch_execz .LBB4_297
; %bb.283:                              ;   in Loop: Header=BB4_257 Depth=2
	s_and_saveexec_b32 s40, s5
	s_cbranch_execz .LBB4_296
; %bb.284:                              ;   in Loop: Header=BB4_257 Depth=2
	s_mov_b32 s42, exec_lo
	s_mov_b32 s41, exec_lo
	v_mbcnt_lo_u32_b32 v3, s42, 0
	global_wb scope:SCOPE_DEV
	s_wait_storecnt 0x0
	s_wait_loadcnt_dscnt 0x0
	global_inv scope:SCOPE_DEV
	v_cmpx_eq_u32_e32 0, v3
	s_cbranch_execz .LBB4_286
; %bb.285:                              ;   in Loop: Header=BB4_257 Depth=2
	s_bcnt1_i32_b32 s42, s42
	s_delay_alu instid0(SALU_CYCLE_1)
	v_mov_b32_e32 v48, s42
	s_wait_loadcnt 0x0
	ds_add_u64 v0, v[48:49]
	s_trap 2
.LBB4_286:                              ;   in Loop: Header=BB4_257 Depth=2
	s_or_b32 exec_lo, exec_lo, s41
	s_trap 2
	ds_load_b64 v[102:103], v0
	s_wait_dscnt 0x0
	v_add_nc_u64_e32 v[14:15], v[14:15], v[50:51]
	s_mov_b32 s41, exec_lo
	s_delay_alu instid0(VALU_DEP_1)
	v_cmpx_lt_u64_e64 v[102:103], v[14:15]
	s_cbranch_execz .LBB4_295
; %bb.287:                              ;   in Loop: Header=BB4_257 Depth=2
	s_mov_b32 s42, 0
	s_mov_b32 s45, 0
                                        ; implicit-def: $sgpr43
                                        ; implicit-def: $sgpr44
	s_branch .LBB4_289
.LBB4_288:                              ;   in Loop: Header=BB4_289 Depth=3
	s_or_b32 exec_lo, exec_lo, s47
	s_delay_alu instid0(SALU_CYCLE_1) | instskip(NEXT) | instid1(SALU_CYCLE_1)
	s_and_b32 s46, exec_lo, s56
	s_or_b32 s42, s46, s42
	s_and_not1_b32 s43, s43, exec_lo
	s_and_b32 s46, s44, exec_lo
	s_delay_alu instid0(SALU_CYCLE_1)
	s_or_b32 s43, s43, s46
	s_and_not1_b32 exec_lo, exec_lo, s42
	s_cbranch_execz .LBB4_293
.LBB4_289:                              ;   Parent Loop BB4_73 Depth=1
                                        ;     Parent Loop BB4_257 Depth=2
                                        ; =>    This Inner Loop Header: Depth=3
	s_add_co_i32 s45, s45, 1
	s_delay_alu instid0(SALU_CYCLE_1) | instskip(SKIP_1) | instid1(SALU_CYCLE_1)
	s_cmp_lg_u32 s45, 0x2710
	s_cselect_b32 s46, -1, 0
	s_and_b32 vcc_lo, exec_lo, s46
	s_cbranch_vccz .LBB4_291
; %bb.290:                              ;   in Loop: Header=BB4_289 Depth=3
	s_mov_b32 s56, -1
	s_or_b32 s44, s44, exec_lo
	s_and_saveexec_b32 s47, s46
	s_cbranch_execz .LBB4_288
	s_branch .LBB4_292
.LBB4_291:                              ;   in Loop: Header=BB4_289 Depth=3
	s_trap 2
	ds_load_b64 v[102:103], v0
	s_and_not1_b32 s46, s46, exec_lo
	s_mov_b32 s45, 0
	s_wait_loadcnt_dscnt 0x0
	flat_load_b32 v3, v[102:103] scope:SCOPE_SYS
	s_wait_loadcnt_dscnt 0x0
	global_inv scope:SCOPE_SYS
	v_cmp_eq_u32_e32 vcc_lo, 0, v3
	s_and_b32 s47, vcc_lo, exec_lo
	s_delay_alu instid0(SALU_CYCLE_1)
	s_or_b32 s46, s46, s47
	s_mov_b32 s56, -1
	s_or_b32 s44, s44, exec_lo
	s_and_saveexec_b32 s47, s46
	s_cbranch_execz .LBB4_288
.LBB4_292:                              ;   in Loop: Header=BB4_289 Depth=3
	s_sleep 1
	s_trap 2
	ds_load_b64 v[102:103], v0
	s_wait_dscnt 0x0
	s_and_not1_b32 s44, s44, exec_lo
	v_cmp_ge_u64_e32 vcc_lo, v[102:103], v[14:15]
	s_or_not1_b32 s56, vcc_lo, exec_lo
	s_branch .LBB4_288
.LBB4_293:                              ;   in Loop: Header=BB4_257 Depth=2
	s_or_b32 exec_lo, exec_lo, s42
	s_and_saveexec_b32 s42, s43
	s_delay_alu instid0(SALU_CYCLE_1)
	s_xor_b32 s42, exec_lo, s42
	s_cbranch_execz .LBB4_295
; %bb.294:                              ;   in Loop: Header=BB4_257 Depth=2
	ds_store_b32 v0, v58
	s_trap 2
.LBB4_295:                              ;   in Loop: Header=BB4_257 Depth=2
	s_or_b32 exec_lo, exec_lo, s41
	;;#ASMSTART
	s_wakeup
	;;#ASMEND
.LBB4_296:                              ;   in Loop: Header=BB4_257 Depth=2
	s_or_b32 exec_lo, exec_lo, s40
.LBB4_297:                              ;   in Loop: Header=BB4_257 Depth=2
	s_and_not1_saveexec_b32 s29, s29
	s_cbranch_execz .LBB4_299
; %bb.298:                              ;   in Loop: Header=BB4_257 Depth=2
	global_wb scope:SCOPE_DEV
	s_wait_storecnt 0x0
	s_wait_loadcnt_dscnt 0x0
	global_inv scope:SCOPE_DEV
	s_barrier_signal -1
	s_barrier_wait -1
.LBB4_299:                              ;   in Loop: Header=BB4_257 Depth=2
	s_or_b32 exec_lo, exec_lo, s29
.LBB4_300:                              ;   in Loop: Header=BB4_257 Depth=2
	s_delay_alu instid0(SALU_CYCLE_1) | instskip(SKIP_3) | instid1(VALU_DEP_1)
	s_or_b32 exec_lo, exec_lo, s13
	s_trap 2
	ds_load_b32 v3, v0
	v_and_b32_e32 v5, 0x4000, v30
	v_cmp_ne_u32_e32 vcc_lo, 0, v5
	s_and_b32 s29, s27, vcc_lo
	s_delay_alu instid0(SALU_CYCLE_1)
	s_and_saveexec_b32 s13, s29
	s_cbranch_execz .LBB4_319
; %bb.301:                              ;   in Loop: Header=BB4_257 Depth=2
	s_and_saveexec_b32 s29, s2
	s_delay_alu instid0(SALU_CYCLE_1)
	s_xor_b32 s29, exec_lo, s29
	s_cbranch_execz .LBB4_316
; %bb.302:                              ;   in Loop: Header=BB4_257 Depth=2
	s_and_saveexec_b32 s40, s5
	s_cbranch_execz .LBB4_315
; %bb.303:                              ;   in Loop: Header=BB4_257 Depth=2
	s_mov_b32 s42, exec_lo
	s_mov_b32 s41, exec_lo
	v_mbcnt_lo_u32_b32 v5, s42, 0
	global_wb scope:SCOPE_DEV
	s_wait_storecnt 0x0
	s_wait_loadcnt_dscnt 0x0
	global_inv scope:SCOPE_DEV
	v_cmpx_eq_u32_e32 0, v5
	s_cbranch_execz .LBB4_305
; %bb.304:                              ;   in Loop: Header=BB4_257 Depth=2
	s_bcnt1_i32_b32 s42, s42
	s_delay_alu instid0(SALU_CYCLE_1)
	v_mov_b32_e32 v48, s42
	s_wait_loadcnt 0x0
	ds_add_u64 v0, v[48:49]
	s_trap 2
.LBB4_305:                              ;   in Loop: Header=BB4_257 Depth=2
	s_or_b32 exec_lo, exec_lo, s41
	s_trap 2
	ds_load_b64 v[102:103], v0
	s_wait_dscnt 0x0
	v_add_nc_u64_e32 v[14:15], v[14:15], v[50:51]
	s_mov_b32 s41, exec_lo
	s_delay_alu instid0(VALU_DEP_1)
	v_cmpx_lt_u64_e64 v[102:103], v[14:15]
	s_cbranch_execz .LBB4_314
; %bb.306:                              ;   in Loop: Header=BB4_257 Depth=2
	s_mov_b32 s42, 0
	s_mov_b32 s45, 0
                                        ; implicit-def: $sgpr43
                                        ; implicit-def: $sgpr44
	s_branch .LBB4_308
.LBB4_307:                              ;   in Loop: Header=BB4_308 Depth=3
	s_or_b32 exec_lo, exec_lo, s47
	s_delay_alu instid0(SALU_CYCLE_1) | instskip(NEXT) | instid1(SALU_CYCLE_1)
	s_and_b32 s46, exec_lo, s56
	s_or_b32 s42, s46, s42
	s_and_not1_b32 s43, s43, exec_lo
	s_and_b32 s46, s44, exec_lo
	s_delay_alu instid0(SALU_CYCLE_1)
	s_or_b32 s43, s43, s46
	s_and_not1_b32 exec_lo, exec_lo, s42
	s_cbranch_execz .LBB4_312
.LBB4_308:                              ;   Parent Loop BB4_73 Depth=1
                                        ;     Parent Loop BB4_257 Depth=2
                                        ; =>    This Inner Loop Header: Depth=3
	s_add_co_i32 s45, s45, 1
	s_delay_alu instid0(SALU_CYCLE_1) | instskip(SKIP_1) | instid1(SALU_CYCLE_1)
	s_cmp_lg_u32 s45, 0x2710
	s_cselect_b32 s46, -1, 0
	s_and_b32 vcc_lo, exec_lo, s46
	s_cbranch_vccz .LBB4_310
; %bb.309:                              ;   in Loop: Header=BB4_308 Depth=3
	s_mov_b32 s56, -1
	s_or_b32 s44, s44, exec_lo
	s_and_saveexec_b32 s47, s46
	s_cbranch_execz .LBB4_307
	s_branch .LBB4_311
.LBB4_310:                              ;   in Loop: Header=BB4_308 Depth=3
	s_trap 2
	ds_load_b64 v[102:103], v0
	s_and_not1_b32 s46, s46, exec_lo
	s_mov_b32 s45, 0
	s_wait_loadcnt_dscnt 0x0
	flat_load_b32 v5, v[102:103] scope:SCOPE_SYS
	s_wait_loadcnt_dscnt 0x0
	global_inv scope:SCOPE_SYS
	v_cmp_eq_u32_e32 vcc_lo, 0, v5
	s_and_b32 s47, vcc_lo, exec_lo
	s_delay_alu instid0(SALU_CYCLE_1)
	s_or_b32 s46, s46, s47
	s_mov_b32 s56, -1
	s_or_b32 s44, s44, exec_lo
	s_and_saveexec_b32 s47, s46
	s_cbranch_execz .LBB4_307
.LBB4_311:                              ;   in Loop: Header=BB4_308 Depth=3
	s_sleep 1
	s_trap 2
	ds_load_b64 v[102:103], v0
	s_wait_dscnt 0x0
	s_and_not1_b32 s44, s44, exec_lo
	v_cmp_ge_u64_e32 vcc_lo, v[102:103], v[14:15]
	s_or_not1_b32 s56, vcc_lo, exec_lo
	s_branch .LBB4_307
.LBB4_312:                              ;   in Loop: Header=BB4_257 Depth=2
	s_or_b32 exec_lo, exec_lo, s42
	s_and_saveexec_b32 s42, s43
	s_delay_alu instid0(SALU_CYCLE_1)
	s_xor_b32 s42, exec_lo, s42
	s_cbranch_execz .LBB4_314
; %bb.313:                              ;   in Loop: Header=BB4_257 Depth=2
	ds_store_b32 v0, v58
	s_trap 2
.LBB4_314:                              ;   in Loop: Header=BB4_257 Depth=2
	s_or_b32 exec_lo, exec_lo, s41
	;;#ASMSTART
	s_wakeup
	;;#ASMEND
.LBB4_315:                              ;   in Loop: Header=BB4_257 Depth=2
	s_or_b32 exec_lo, exec_lo, s40
.LBB4_316:                              ;   in Loop: Header=BB4_257 Depth=2
	s_and_not1_saveexec_b32 s29, s29
	s_cbranch_execz .LBB4_318
; %bb.317:                              ;   in Loop: Header=BB4_257 Depth=2
	global_wb scope:SCOPE_DEV
	s_wait_storecnt 0x0
	s_wait_loadcnt_dscnt 0x0
	global_inv scope:SCOPE_DEV
	s_barrier_signal -1
	s_barrier_wait -1
.LBB4_318:                              ;   in Loop: Header=BB4_257 Depth=2
	s_or_b32 exec_lo, exec_lo, s29
.LBB4_319:                              ;   in Loop: Header=BB4_257 Depth=2
	s_delay_alu instid0(SALU_CYCLE_1)
	s_or_b32 exec_lo, exec_lo, s13
	s_trap 2
	ds_load_b64 v[102:103], v0
	s_wait_dscnt 0x0
	v_cmp_eq_u64_e32 vcc_lo, 0, v[102:103]
	s_cbranch_vccnz .LBB4_327
; %bb.320:                              ;   in Loop: Header=BB4_257 Depth=2
	s_trap 2
	ds_load_b64 v[112:113], v0
	s_wait_dscnt 0x0
	v_cmp_eq_u64_e32 vcc_lo, 0, v[112:113]
	s_cbranch_vccnz .LBB4_327
; %bb.321:                              ;   in Loop: Header=BB4_257 Depth=2
	s_mov_b32 s13, -1
	s_and_saveexec_b32 s29, s6
	s_cbranch_execz .LBB4_323
; %bb.322:                              ;   in Loop: Header=BB4_257 Depth=2
	ds_load_b32 v5, v0 offset:720
	s_wait_dscnt 0x0
	v_and_b32_e32 v5, 15, v5
	s_delay_alu instid0(VALU_DEP_1)
	v_cmp_eq_u32_e32 vcc_lo, 0, v5
	s_or_not1_b32 s13, vcc_lo, exec_lo
.LBB4_323:                              ;   in Loop: Header=BB4_257 Depth=2
	s_or_b32 exec_lo, exec_lo, s29
	s_and_saveexec_b32 s29, s11
	s_cbranch_execz .LBB4_325
; %bb.324:                              ;   in Loop: Header=BB4_257 Depth=2
	ds_load_b32 v5, v0 offset:784
	s_wait_dscnt 0x0
	v_and_b32_e32 v5, 15, v5
	s_delay_alu instid0(VALU_DEP_1) | instskip(SKIP_3) | instid1(SALU_CYCLE_1)
	v_cmp_eq_u32_e32 vcc_lo, 0, v5
	s_and_b32 s40, s13, vcc_lo
	s_and_not1_b32 s13, s13, exec_lo
	s_and_b32 s40, s40, exec_lo
	s_or_b32 s13, s13, s40
.LBB4_325:                              ;   in Loop: Header=BB4_257 Depth=2
	s_or_b32 exec_lo, exec_lo, s29
	v_cmp_eq_u32_e32 vcc_lo, 0, v3
	s_xor_b32 s13, s13, -1
	v_mov_b32_e32 v114, v61
	v_cndmask_b32_e64 v5, 0, 1, s13
	s_mov_b32 s40, -1
	v_dual_cndmask_b32 v3, 0, v4 :: v_dual_mov_b32 v116, v0
	s_delay_alu instid0(VALU_DEP_2) | instskip(NEXT) | instid1(VALU_DEP_2)
	v_cmp_ne_u32_e32 vcc_lo, 0, v5
	v_dual_mov_b32 v5, 0 :: v_dual_mov_b32 v48, v3
	s_cbranch_vccz .LBB4_332
; %bb.326:                              ;   in Loop: Header=BB4_257 Depth=2
	s_and_saveexec_b32 s13, s40
	s_cbranch_execnz .LBB4_345
	s_branch .LBB4_353
.LBB4_327:                              ;   in Loop: Header=BB4_257 Depth=2
	s_mov_b32 s13, 0
	s_and_saveexec_b32 s29, s1
	s_cbranch_execnz .LBB4_354
.LBB4_328:                              ;   in Loop: Header=BB4_257 Depth=2
	s_or_b32 exec_lo, exec_lo, s29
                                        ; implicit-def: $vgpr3
	s_and_saveexec_b32 s29, s7
	s_delay_alu instid0(SALU_CYCLE_1)
	s_xor_b32 s29, exec_lo, s29
	s_cbranch_execz .LBB4_372
.LBB4_329:                              ;   in Loop: Header=BB4_257 Depth=2
	v_and_b32_e32 v3, 16, v30
	s_delay_alu instid0(VALU_DEP_1) | instskip(SKIP_2) | instid1(SALU_CYCLE_1)
	v_cmp_ne_u32_e32 vcc_lo, 0, v3
	v_and_b32_e32 v3, 16, v30
	s_and_b32 s40, vcc_lo, s13
	s_and_saveexec_b32 s13, s40
	s_cbranch_execz .LBB4_331
; %bb.330:                              ;   in Loop: Header=BB4_257 Depth=2
	v_mov_b32_e32 v3, 1
	global_wb scope:SCOPE_SYS
	s_wait_storecnt 0x0
	s_wait_loadcnt_dscnt 0x0
	global_inv scope:SCOPE_SYS
.LBB4_331:                              ;   in Loop: Header=BB4_257 Depth=2
	s_or_b32 exec_lo, exec_lo, s13
	s_and_not1_saveexec_b32 s13, s29
	s_cbranch_execz .LBB4_391
	s_branch .LBB4_373
.LBB4_332:                              ;   in Loop: Header=BB4_257 Depth=2
	v_ashrrev_i32_e32 v5, 31, v3
	s_mov_b32 s13, exec_lo
	s_delay_alu instid0(VALU_DEP_1) | instskip(NEXT) | instid1(VALU_DEP_1)
	v_lshrrev_b32_e32 v5, 22, v5
	v_add_nc_u32_e32 v5, v3, v5
	s_delay_alu instid0(VALU_DEP_1) | instskip(NEXT) | instid1(VALU_DEP_1)
	v_ashrrev_i32_e32 v5, 10, v5
	v_sub_nc_u32_e32 v118, v5, v61
	s_delay_alu instid0(VALU_DEP_1)
	v_cmpx_lt_i32_e32 0, v118
	s_cbranch_execz .LBB4_336
; %bb.333:                              ;   in Loop: Header=BB4_257 Depth=2
	v_mov_b64_e32 v[114:115], v[96:97]
	s_mov_b32 s29, 0
.LBB4_334:                              ;   Parent Loop BB4_73 Depth=1
                                        ;     Parent Loop BB4_257 Depth=2
                                        ; =>    This Inner Loop Header: Depth=3
	s_delay_alu instid0(VALU_DEP_1)
	v_add_nc_u64_e32 v[116:117], v[102:103], v[114:115]
	v_sub_nc_u32_e32 v118, v118, v50
	s_clause 0x1
	global_load_b128 v[40:43], v[116:117], off th:TH_LOAD_NT
	global_load_b128 v[44:47], v[116:117], off offset:512 th:TH_LOAD_NT
	s_wait_xcnt 0x0
	v_add_nc_u64_e32 v[116:117], v[112:113], v[114:115]
	v_cmp_gt_i32_e32 vcc_lo, 1, v118
	v_add_nc_u64_e32 v[114:115], v[114:115], v[80:81]
	s_wait_loadcnt 0x1
	global_store_b128 v[116:117], v[40:43], off th:TH_STORE_NT
	s_wait_loadcnt 0x0
	global_store_b128 v[116:117], v[44:47], off offset:512 th:TH_STORE_NT
	s_or_b32 s29, vcc_lo, s29
	s_wait_xcnt 0x0
	s_and_not1_b32 exec_lo, exec_lo, s29
	s_cbranch_execnz .LBB4_334
; %bb.335:                              ;   in Loop: Header=BB4_257 Depth=2
	s_or_b32 exec_lo, exec_lo, s29
.LBB4_336:                              ;   in Loop: Header=BB4_257 Depth=2
	s_delay_alu instid0(SALU_CYCLE_1) | instskip(SKIP_3) | instid1(VALU_DEP_1)
	s_or_b32 exec_lo, exec_lo, s13
	v_dual_lshlrev_b32 v117, 10, v5 :: v_dual_mov_b32 v5, 0
	s_mov_b32 s40, 0
	s_mov_b32 s29, exec_lo
                                        ; implicit-def: $vgpr48
                                        ; implicit-def: $vgpr116
                                        ; implicit-def: $vgpr114
	v_cmpx_ne_u32_e64 v3, v117
	s_cbranch_execz .LBB4_344
; %bb.337:                              ;   in Loop: Header=BB4_257 Depth=2
	v_dual_lshlrev_b32 v5, 5, v118 :: v_dual_sub_nc_u32 v114, v3, v117
	s_mov_b32 s40, exec_lo
	s_delay_alu instid0(VALU_DEP_1) | instskip(NEXT) | instid1(VALU_DEP_1)
	v_dual_sub_nc_u32 v5, v62, v5 :: v_dual_ashrrev_i32 v115, 31, v114
	v_dual_ashrrev_i32 v48, 31, v5 :: v_dual_lshrrev_b32 v115, 23, v115
	s_delay_alu instid0(VALU_DEP_1) | instskip(NEXT) | instid1(VALU_DEP_1)
	v_lshrrev_b32_e32 v48, 27, v48
	v_add_nc_u32_e32 v48, v5, v48
	s_delay_alu instid0(VALU_DEP_1) | instskip(NEXT) | instid1(VALU_DEP_1)
	v_and_b32_e32 v116, 0xffffffe0, v48
	v_dual_add_nc_u32 v115, v114, v115 :: v_dual_sub_nc_u32 v119, v5, v116
	s_delay_alu instid0(VALU_DEP_1) | instskip(SKIP_1) | instid1(VALU_DEP_2)
	v_and_b32_e32 v118, 0xfffffe00, v115
	v_dual_ashrrev_i32 v116, 5, v48 :: v_dual_ashrrev_i32 v115, 9, v115
	v_dual_lshlrev_b32 v5, 4, v119 :: v_dual_sub_nc_u32 v40, v114, v118
	s_delay_alu instid0(VALU_DEP_1) | instskip(NEXT) | instid1(VALU_DEP_2)
	v_lshl_add_u32 v48, v116, 9, v5
	v_cmp_lt_i32_e32 vcc_lo, 15, v40
	s_delay_alu instid0(VALU_DEP_2) | instskip(SKIP_1) | instid1(VALU_DEP_1)
	v_sub_nc_u32_e32 v5, v114, v48
	v_add_co_ci_u32_e64 v115, null, 0, v115, vcc_lo
	v_sub_nc_u32_e32 v41, v115, v116
	s_delay_alu instid0(VALU_DEP_3)
	v_cmpx_lt_i32_e32 15, v5
	s_cbranch_execz .LBB4_341
; %bb.338:                              ;   in Loop: Header=BB4_257 Depth=2
	v_add_nc_u32_e32 v114, v48, v117
	s_mov_b32 s41, 0
	s_delay_alu instid0(VALU_DEP_1)
	v_ashrrev_i32_e32 v115, 31, v114
.LBB4_339:                              ;   Parent Loop BB4_73 Depth=1
                                        ;     Parent Loop BB4_257 Depth=2
                                        ; =>    This Inner Loop Header: Depth=3
	s_delay_alu instid0(VALU_DEP_1) | instskip(SKIP_4) | instid1(VALU_DEP_4)
	v_add_nc_u64_e32 v[42:43], v[102:103], v[114:115]
	v_sub_nc_u32_e32 v5, v5, v60
	v_add_nc_u64_e32 v[46:47], v[112:113], v[114:115]
	v_add_nc_u64_e32 v[114:115], v[114:115], v[86:87]
	v_sub_nc_u32_e32 v41, v41, v50
	v_cmp_gt_i32_e64 s13, 16, v5
	global_load_b128 v[42:45], v[42:43], off th:TH_LOAD_NT
	s_or_b32 s41, s13, s41
	s_wait_loadcnt 0x0
	global_store_b128 v[46:47], v[42:45], off th:TH_STORE_NT
	s_wait_xcnt 0x0
	s_and_not1_b32 exec_lo, exec_lo, s41
	s_cbranch_execnz .LBB4_339
; %bb.340:                              ;   in Loop: Header=BB4_257 Depth=2
	s_or_b32 exec_lo, exec_lo, s41
.LBB4_341:                              ;   in Loop: Header=BB4_257 Depth=2
	s_delay_alu instid0(SALU_CYCLE_1) | instskip(SKIP_3) | instid1(VALU_DEP_1)
	s_or_b32 exec_lo, exec_lo, s40
	v_dual_mov_b32 v5, 0 :: v_dual_bitop2_b32 v115, 15, v3 bitop3:0x40
	s_mov_b32 s40, 0
	s_mov_b32 s41, exec_lo
                                        ; implicit-def: $vgpr116
                                        ; implicit-def: $vgpr114
	v_cndmask_b32_e32 v48, v40, v115, vcc_lo
	s_delay_alu instid0(VALU_DEP_1)
	v_cmpx_ne_u32_e32 0, v48
	s_cbranch_execz .LBB4_343
; %bb.342:                              ;   in Loop: Header=BB4_257 Depth=2
	v_cmp_lt_i32_e64 s13, 0, v41
	s_mov_b32 s40, exec_lo
	v_dual_sub_nc_u32 v114, v40, v115 :: v_dual_cndmask_b32 v5, 0, v50, s13
	s_delay_alu instid0(VALU_DEP_1) | instskip(NEXT) | instid1(VALU_DEP_1)
	v_dual_cndmask_b32 v114, 0, v114 :: v_dual_sub_nc_u32 v5, v5, v41
	v_lshl_add_u32 v116, v5, 5, v119
	s_delay_alu instid0(VALU_DEP_1) | instskip(NEXT) | instid1(VALU_DEP_1)
	v_ashrrev_i32_e32 v5, 31, v116
	v_lshrrev_b32_e32 v5, 27, v5
	s_delay_alu instid0(VALU_DEP_1) | instskip(SKIP_1) | instid1(VALU_DEP_2)
	v_add_nc_u32_e32 v115, v116, v5
	v_add3_u32 v5, v118, v117, v114
	v_ashrrev_i32_e32 v114, 5, v115
.LBB4_343:                              ;   in Loop: Header=BB4_257 Depth=2
	s_or_b32 exec_lo, exec_lo, s41
	s_delay_alu instid0(SALU_CYCLE_1)
	s_and_b32 s40, s40, exec_lo
.LBB4_344:                              ;   in Loop: Header=BB4_257 Depth=2
	s_or_b32 exec_lo, exec_lo, s29
	s_and_saveexec_b32 s13, s40
	s_cbranch_execz .LBB4_353
.LBB4_345:                              ;   in Loop: Header=BB4_257 Depth=2
	v_ashrrev_i32_e32 v115, 31, v48
	s_mov_b32 s29, exec_lo
	s_delay_alu instid0(VALU_DEP_1) | instskip(NEXT) | instid1(VALU_DEP_1)
	v_lshrrev_b32_e32 v115, 24, v115
	v_add_nc_u32_e32 v115, v48, v115
	s_delay_alu instid0(VALU_DEP_1) | instskip(NEXT) | instid1(VALU_DEP_1)
	v_dual_ashrrev_i32 v119, 8, v115 :: v_dual_ashrrev_i32 v115, 31, v116
	v_dual_sub_nc_u32 v117, v119, v114 :: v_dual_lshrrev_b32 v118, 27, v115
	s_delay_alu instid0(VALU_DEP_1)
	v_cmpx_lt_i32_e32 0, v117
	s_cbranch_execz .LBB4_349
; %bb.346:                              ;   in Loop: Header=BB4_257 Depth=2
	s_delay_alu instid0(VALU_DEP_2) | instskip(SKIP_2) | instid1(VALU_DEP_2)
	v_add_nc_u32_e32 v115, v116, v118
	s_mov_b32 s40, 0
	v_lshlrev_b32_e32 v114, 8, v114
	v_and_b32_e32 v115, 0xffffffe0, v115
	s_delay_alu instid0(VALU_DEP_1) | instskip(NEXT) | instid1(VALU_DEP_1)
	v_sub_nc_u32_e32 v115, v116, v115
	v_add3_u32 v114, v5, v115, v114
	s_delay_alu instid0(VALU_DEP_1)
	v_ashrrev_i32_e32 v115, 31, v114
.LBB4_347:                              ;   Parent Loop BB4_73 Depth=1
                                        ;     Parent Loop BB4_257 Depth=2
                                        ; =>    This Inner Loop Header: Depth=3
	s_delay_alu instid0(VALU_DEP_1)
	v_add_nc_u64_e32 v[40:41], v[114:115], v[102:103]
	v_sub_nc_u32_e32 v117, v117, v50
	v_add_nc_u64_e32 v[102:103], v[102:103], v[68:69]
	s_clause 0x7
	flat_load_u8 v42, v[40:41] th:TH_LOAD_NT
	flat_load_u8 v43, v[40:41] offset:32 th:TH_LOAD_NT
	flat_load_u8 v44, v[40:41] offset:64 th:TH_LOAD_NT
	;; [unrolled: 1-line block ×7, first 2 shown]
	s_wait_xcnt 0x0
	v_add_nc_u64_e32 v[40:41], v[114:115], v[112:113]
	v_add_nc_u64_e32 v[112:113], v[112:113], v[68:69]
	v_cmp_gt_i32_e32 vcc_lo, 1, v117
	s_wait_loadcnt_dscnt 0x707
	flat_store_b8 v[40:41], v42 th:TH_STORE_NT
	s_wait_loadcnt_dscnt 0x607
	flat_store_b8 v[40:41], v43 offset:32 th:TH_STORE_NT
	s_wait_loadcnt_dscnt 0x507
	flat_store_b8 v[40:41], v44 offset:64 th:TH_STORE_NT
	;; [unrolled: 2-line block ×7, first 2 shown]
	s_or_b32 s40, vcc_lo, s40
	s_wait_xcnt 0x0
	s_and_not1_b32 exec_lo, exec_lo, s40
	s_cbranch_execnz .LBB4_347
; %bb.348:                              ;   in Loop: Header=BB4_257 Depth=2
	s_or_b32 exec_lo, exec_lo, s40
.LBB4_349:                              ;   in Loop: Header=BB4_257 Depth=2
	s_delay_alu instid0(SALU_CYCLE_1) | instskip(SKIP_1) | instid1(VALU_DEP_1)
	s_or_b32 exec_lo, exec_lo, s29
	v_lshlrev_b32_e32 v102, 8, v119
	v_cmp_ne_u32_e32 vcc_lo, v48, v102
	s_and_b32 exec_lo, exec_lo, vcc_lo
	s_cbranch_execz .LBB4_353
; %bb.350:                              ;   in Loop: Header=BB4_257 Depth=2
	v_dual_add_nc_u32 v103, v116, v118 :: v_dual_lshlrev_b32 v112, 5, v117
	s_delay_alu instid0(VALU_DEP_1) | instskip(NEXT) | instid1(VALU_DEP_1)
	v_and_b32_e32 v103, 0xffffffe0, v103
	v_sub_nc_u32_e32 v103, v116, v103
	s_delay_alu instid0(VALU_DEP_1) | instskip(NEXT) | instid1(VALU_DEP_1)
	v_sub_nc_u32_e32 v103, v103, v112
	v_add_nc_u32_e32 v112, v102, v103
	s_delay_alu instid0(VALU_DEP_1) | instskip(NEXT) | instid1(VALU_DEP_1)
	v_sub_nc_u32_e32 v48, v48, v112
	v_cmp_lt_i32_e32 vcc_lo, 0, v48
	s_and_b32 exec_lo, exec_lo, vcc_lo
	s_cbranch_execz .LBB4_353
; %bb.351:                              ;   in Loop: Header=BB4_257 Depth=2
	s_trap 2
	ds_load_b64 v[102:103], v0
	v_add_nc_u32_e32 v112, v112, v5
	s_mov_b32 s29, 0
	s_delay_alu instid0(VALU_DEP_1)
	v_ashrrev_i32_e32 v113, 31, v112
.LBB4_352:                              ;   Parent Loop BB4_73 Depth=1
                                        ;     Parent Loop BB4_257 Depth=2
                                        ; =>    This Inner Loop Header: Depth=3
	s_wait_dscnt 0x0
	s_delay_alu instid0(VALU_DEP_1) | instskip(SKIP_2) | instid1(VALU_DEP_2)
	v_add_nc_u64_e32 v[114:115], v[102:103], v[112:113]
	v_sub_nc_u32_e32 v48, v48, v57
	v_add_nc_u64_e32 v[112:113], v[112:113], v[84:85]
	v_cmp_gt_i32_e32 vcc_lo, 1, v48
	flat_load_u8 v5, v[114:115] th:TH_LOAD_NT
	s_or_b32 s29, vcc_lo, s29
	s_wait_loadcnt_dscnt 0x0
	flat_store_b8 v[114:115], v5 th:TH_STORE_NT
	s_wait_xcnt 0x0
	s_and_not1_b32 exec_lo, exec_lo, s29
	s_cbranch_execnz .LBB4_352
.LBB4_353:                              ;   in Loop: Header=BB4_257 Depth=2
	s_or_b32 exec_lo, exec_lo, s13
	v_cmp_lt_i32_e64 s13, 0, v3
	s_and_saveexec_b32 s29, s1
	s_cbranch_execz .LBB4_328
.LBB4_354:                              ;   in Loop: Header=BB4_257 Depth=2
	s_and_saveexec_b32 s40, s2
	s_delay_alu instid0(SALU_CYCLE_1)
	s_xor_b32 s40, exec_lo, s40
	s_cbranch_execz .LBB4_369
; %bb.355:                              ;   in Loop: Header=BB4_257 Depth=2
	s_and_saveexec_b32 s41, s5
	s_cbranch_execz .LBB4_368
; %bb.356:                              ;   in Loop: Header=BB4_257 Depth=2
	s_mov_b32 s43, exec_lo
	s_mov_b32 s42, exec_lo
	v_mbcnt_lo_u32_b32 v3, s43, 0
	global_wb scope:SCOPE_DEV
	s_wait_storecnt 0x0
	s_wait_loadcnt_dscnt 0x0
	global_inv scope:SCOPE_DEV
	v_cmpx_eq_u32_e32 0, v3
	s_cbranch_execz .LBB4_358
; %bb.357:                              ;   in Loop: Header=BB4_257 Depth=2
	s_bcnt1_i32_b32 s43, s43
	s_delay_alu instid0(SALU_CYCLE_1)
	v_mov_b32_e32 v48, s43
	s_wait_loadcnt 0x0
	ds_add_u64 v0, v[48:49]
	s_trap 2
.LBB4_358:                              ;   in Loop: Header=BB4_257 Depth=2
	s_or_b32 exec_lo, exec_lo, s42
	s_trap 2
	ds_load_b64 v[102:103], v0
	s_wait_dscnt 0x0
	v_add_nc_u64_e32 v[14:15], v[14:15], v[50:51]
	s_mov_b32 s42, exec_lo
	s_delay_alu instid0(VALU_DEP_1)
	v_cmpx_lt_u64_e64 v[102:103], v[14:15]
	s_cbranch_execz .LBB4_367
; %bb.359:                              ;   in Loop: Header=BB4_257 Depth=2
	s_mov_b32 s43, 0
	s_mov_b32 s46, 0
                                        ; implicit-def: $sgpr44
                                        ; implicit-def: $sgpr45
	s_branch .LBB4_361
.LBB4_360:                              ;   in Loop: Header=BB4_361 Depth=3
	s_or_b32 exec_lo, exec_lo, s56
	s_delay_alu instid0(SALU_CYCLE_1) | instskip(NEXT) | instid1(SALU_CYCLE_1)
	s_and_b32 s47, exec_lo, s57
	s_or_b32 s43, s47, s43
	s_and_not1_b32 s44, s44, exec_lo
	s_and_b32 s47, s45, exec_lo
	s_delay_alu instid0(SALU_CYCLE_1)
	s_or_b32 s44, s44, s47
	s_and_not1_b32 exec_lo, exec_lo, s43
	s_cbranch_execz .LBB4_365
.LBB4_361:                              ;   Parent Loop BB4_73 Depth=1
                                        ;     Parent Loop BB4_257 Depth=2
                                        ; =>    This Inner Loop Header: Depth=3
	s_add_co_i32 s46, s46, 1
	s_delay_alu instid0(SALU_CYCLE_1) | instskip(SKIP_1) | instid1(SALU_CYCLE_1)
	s_cmp_lg_u32 s46, 0x2710
	s_cselect_b32 s47, -1, 0
	s_and_b32 vcc_lo, exec_lo, s47
	s_cbranch_vccz .LBB4_363
; %bb.362:                              ;   in Loop: Header=BB4_361 Depth=3
	s_mov_b32 s57, -1
	s_or_b32 s45, s45, exec_lo
	s_and_saveexec_b32 s56, s47
	s_cbranch_execz .LBB4_360
	s_branch .LBB4_364
.LBB4_363:                              ;   in Loop: Header=BB4_361 Depth=3
	s_trap 2
	ds_load_b64 v[102:103], v0
	s_and_not1_b32 s47, s47, exec_lo
	s_mov_b32 s46, 0
	s_wait_loadcnt_dscnt 0x0
	flat_load_b32 v3, v[102:103] scope:SCOPE_SYS
	s_wait_loadcnt_dscnt 0x0
	global_inv scope:SCOPE_SYS
	v_cmp_eq_u32_e32 vcc_lo, 0, v3
	s_and_b32 s56, vcc_lo, exec_lo
	s_delay_alu instid0(SALU_CYCLE_1)
	s_or_b32 s47, s47, s56
	s_mov_b32 s57, -1
	s_or_b32 s45, s45, exec_lo
	s_and_saveexec_b32 s56, s47
	s_cbranch_execz .LBB4_360
.LBB4_364:                              ;   in Loop: Header=BB4_361 Depth=3
	s_sleep 1
	s_trap 2
	ds_load_b64 v[102:103], v0
	s_wait_dscnt 0x0
	s_and_not1_b32 s45, s45, exec_lo
	v_cmp_ge_u64_e32 vcc_lo, v[102:103], v[14:15]
	s_or_not1_b32 s57, vcc_lo, exec_lo
	s_branch .LBB4_360
.LBB4_365:                              ;   in Loop: Header=BB4_257 Depth=2
	s_or_b32 exec_lo, exec_lo, s43
	s_and_saveexec_b32 s43, s44
	s_delay_alu instid0(SALU_CYCLE_1)
	s_xor_b32 s43, exec_lo, s43
	s_cbranch_execz .LBB4_367
; %bb.366:                              ;   in Loop: Header=BB4_257 Depth=2
	ds_store_b32 v0, v58
	s_trap 2
.LBB4_367:                              ;   in Loop: Header=BB4_257 Depth=2
	s_or_b32 exec_lo, exec_lo, s42
	;;#ASMSTART
	s_wakeup
	;;#ASMEND
.LBB4_368:                              ;   in Loop: Header=BB4_257 Depth=2
	s_or_b32 exec_lo, exec_lo, s41
.LBB4_369:                              ;   in Loop: Header=BB4_257 Depth=2
	s_and_not1_saveexec_b32 s40, s40
	s_cbranch_execz .LBB4_371
; %bb.370:                              ;   in Loop: Header=BB4_257 Depth=2
	global_wb scope:SCOPE_DEV
	s_wait_storecnt 0x0
	s_wait_loadcnt_dscnt 0x0
	global_inv scope:SCOPE_DEV
	s_barrier_signal -1
	s_barrier_wait -1
.LBB4_371:                              ;   in Loop: Header=BB4_257 Depth=2
	s_or_b32 exec_lo, exec_lo, s40
	s_delay_alu instid0(SALU_CYCLE_1) | instskip(SKIP_1) | instid1(SALU_CYCLE_1)
	s_or_b32 exec_lo, exec_lo, s29
                                        ; implicit-def: $vgpr3
	s_and_saveexec_b32 s29, s7
	s_xor_b32 s29, exec_lo, s29
	s_cbranch_execnz .LBB4_329
.LBB4_372:                              ;   in Loop: Header=BB4_257 Depth=2
	s_and_not1_saveexec_b32 s13, s29
	s_cbranch_execz .LBB4_391
.LBB4_373:                              ;   in Loop: Header=BB4_257 Depth=2
	s_and_saveexec_b32 s29, s2
	s_delay_alu instid0(SALU_CYCLE_1)
	s_xor_b32 s29, exec_lo, s29
	s_cbranch_execz .LBB4_388
; %bb.374:                              ;   in Loop: Header=BB4_257 Depth=2
	s_and_saveexec_b32 s40, s5
	s_cbranch_execz .LBB4_387
; %bb.375:                              ;   in Loop: Header=BB4_257 Depth=2
	s_mov_b32 s42, exec_lo
	s_mov_b32 s41, exec_lo
	v_mbcnt_lo_u32_b32 v3, s42, 0
	;;#ASMSTART
	s_waitcnt lgkmcnt(0) vmcnt(0)
	;;#ASMEND
	s_delay_alu instid0(VALU_DEP_1)
	v_cmpx_eq_u32_e32 0, v3
	s_cbranch_execz .LBB4_377
; %bb.376:                              ;   in Loop: Header=BB4_257 Depth=2
	s_bcnt1_i32_b32 s42, s42
	s_delay_alu instid0(SALU_CYCLE_1)
	v_mov_b32_e32 v48, s42
	s_wait_storecnt 0x0
	s_wait_loadcnt_dscnt 0x0
	ds_add_u64 v0, v[48:49]
	s_trap 2
.LBB4_377:                              ;   in Loop: Header=BB4_257 Depth=2
	s_or_b32 exec_lo, exec_lo, s41
	s_trap 2
	ds_load_b64 v[102:103], v0
	s_wait_dscnt 0x0
	v_add_nc_u64_e32 v[14:15], v[14:15], v[50:51]
	s_mov_b32 s41, exec_lo
	s_delay_alu instid0(VALU_DEP_1)
	v_cmpx_lt_u64_e64 v[102:103], v[14:15]
	s_cbranch_execz .LBB4_386
; %bb.378:                              ;   in Loop: Header=BB4_257 Depth=2
	s_mov_b32 s42, 0
	s_mov_b32 s45, 0
                                        ; implicit-def: $sgpr43
                                        ; implicit-def: $sgpr44
	s_branch .LBB4_380
.LBB4_379:                              ;   in Loop: Header=BB4_380 Depth=3
	s_or_b32 exec_lo, exec_lo, s47
	s_delay_alu instid0(SALU_CYCLE_1) | instskip(NEXT) | instid1(SALU_CYCLE_1)
	s_and_b32 s46, exec_lo, s56
	s_or_b32 s42, s46, s42
	s_and_not1_b32 s43, s43, exec_lo
	s_and_b32 s46, s44, exec_lo
	s_delay_alu instid0(SALU_CYCLE_1)
	s_or_b32 s43, s43, s46
	s_and_not1_b32 exec_lo, exec_lo, s42
	s_cbranch_execz .LBB4_384
.LBB4_380:                              ;   Parent Loop BB4_73 Depth=1
                                        ;     Parent Loop BB4_257 Depth=2
                                        ; =>    This Inner Loop Header: Depth=3
	s_add_co_i32 s45, s45, 1
	s_delay_alu instid0(SALU_CYCLE_1) | instskip(SKIP_1) | instid1(SALU_CYCLE_1)
	s_cmp_lg_u32 s45, 0x2710
	s_cselect_b32 s46, -1, 0
	s_and_b32 vcc_lo, exec_lo, s46
	s_cbranch_vccz .LBB4_382
; %bb.381:                              ;   in Loop: Header=BB4_380 Depth=3
	s_mov_b32 s56, -1
	s_or_b32 s44, s44, exec_lo
	s_and_saveexec_b32 s47, s46
	s_cbranch_execz .LBB4_379
	s_branch .LBB4_383
.LBB4_382:                              ;   in Loop: Header=BB4_380 Depth=3
	s_trap 2
	ds_load_b64 v[102:103], v0
	s_and_not1_b32 s46, s46, exec_lo
	s_mov_b32 s45, 0
	s_wait_storecnt 0x0
	s_wait_loadcnt_dscnt 0x0
	flat_load_b32 v3, v[102:103] scope:SCOPE_SYS
	s_wait_loadcnt_dscnt 0x0
	global_inv scope:SCOPE_SYS
	v_cmp_eq_u32_e32 vcc_lo, 0, v3
	s_and_b32 s47, vcc_lo, exec_lo
	s_delay_alu instid0(SALU_CYCLE_1)
	s_or_b32 s46, s46, s47
	s_mov_b32 s56, -1
	s_or_b32 s44, s44, exec_lo
	s_and_saveexec_b32 s47, s46
	s_cbranch_execz .LBB4_379
.LBB4_383:                              ;   in Loop: Header=BB4_380 Depth=3
	s_sleep 1
	s_trap 2
	ds_load_b64 v[102:103], v0
	s_wait_dscnt 0x0
	s_and_not1_b32 s44, s44, exec_lo
	v_cmp_ge_u64_e32 vcc_lo, v[102:103], v[14:15]
	s_or_not1_b32 s56, vcc_lo, exec_lo
	s_branch .LBB4_379
.LBB4_384:                              ;   in Loop: Header=BB4_257 Depth=2
	s_or_b32 exec_lo, exec_lo, s42
	s_and_saveexec_b32 s42, s43
	s_delay_alu instid0(SALU_CYCLE_1)
	s_xor_b32 s42, exec_lo, s42
	s_cbranch_execz .LBB4_386
; %bb.385:                              ;   in Loop: Header=BB4_257 Depth=2
	ds_store_b32 v0, v58
	s_trap 2
.LBB4_386:                              ;   in Loop: Header=BB4_257 Depth=2
	s_or_b32 exec_lo, exec_lo, s41
	;;#ASMSTART
	s_wakeup
	;;#ASMEND
.LBB4_387:                              ;   in Loop: Header=BB4_257 Depth=2
	s_or_b32 exec_lo, exec_lo, s40
.LBB4_388:                              ;   in Loop: Header=BB4_257 Depth=2
	s_and_not1_saveexec_b32 s29, s29
	s_cbranch_execz .LBB4_390
; %bb.389:                              ;   in Loop: Header=BB4_257 Depth=2
	;;#ASMSTART
	s_waitcnt lgkmcnt(0) vmcnt(0)
	;;#ASMEND
	s_barrier_signal -1
	s_barrier_wait -1
.LBB4_390:                              ;   in Loop: Header=BB4_257 Depth=2
	s_or_b32 exec_lo, exec_lo, s29
	v_and_b32_e32 v3, 16, v30
.LBB4_391:                              ;   in Loop: Header=BB4_257 Depth=2
	s_or_b32 exec_lo, exec_lo, s13
	s_delay_alu instid0(SALU_CYCLE_1) | instskip(NEXT) | instid1(VALU_DEP_1)
	s_mov_b32 s13, exec_lo
	v_cmpx_ne_u32_e32 0, v3
	s_cbranch_execz .LBB4_256
; %bb.392:                              ;   in Loop: Header=BB4_257 Depth=2
	s_and_saveexec_b32 s29, s4
	s_cbranch_execz .LBB4_255
; %bb.393:                              ;   in Loop: Header=BB4_257 Depth=2
	global_wb scope:SCOPE_SYS
	s_wait_storecnt 0x0
	s_wait_loadcnt_dscnt 0x0
	flat_store_b32 v[34:35], v58 scope:SCOPE_SYS
	s_branch .LBB4_255
.LBB4_394:                              ;   in Loop: Header=BB4_73 Depth=1
	s_or_b32 exec_lo, exec_lo, s40
.LBB4_395:                              ;   in Loop: Header=BB4_73 Depth=1
	s_delay_alu instid0(SALU_CYCLE_1) | instskip(NEXT) | instid1(SALU_CYCLE_1)
	s_or_b32 exec_lo, exec_lo, s29
	s_mov_b32 s14, exec_lo
	v_cmpx_gt_i32_e32 2, v2
	s_cbranch_execz .LBB4_539
; %bb.396:                              ;   in Loop: Header=BB4_73 Depth=1
	v_cmp_eq_u32_e64 s16, 0, v2
	s_mov_b32 s15, 0
	s_branch .LBB4_399
.LBB4_397:                              ;   in Loop: Header=BB4_399 Depth=2
	s_wait_xcnt 0x0
	s_or_b32 exec_lo, exec_lo, s16
	v_add_nc_u64_e32 v[98:99], 2, v[98:99]
	global_wb scope:SCOPE_SYS
	s_wait_storecnt 0x0
	s_wait_loadcnt_dscnt 0x0
	flat_store_b64 v[26:27], v[98:99] scope:SCOPE_SYS
.LBB4_398:                              ;   in Loop: Header=BB4_399 Depth=2
	s_wait_xcnt 0x0
	s_or_b32 exec_lo, exec_lo, s13
	v_add_nc_u32_e32 v102, v112, v102
	s_mov_b32 s16, 0
	s_and_not1_b32 exec_lo, exec_lo, s15
	s_cbranch_execz .LBB4_538
.LBB4_399:                              ;   Parent Loop BB4_73 Depth=1
                                        ; =>  This Loop Header: Depth=2
                                        ;       Child Loop BB4_405 Depth 3
                                        ;       Child Loop BB4_429 Depth 3
                                        ;       Child Loop BB4_452 Depth 3
	s_delay_alu instid0(VALU_DEP_1) | instskip(SKIP_2) | instid1(VALU_DEP_2)
	v_sub_nc_u32_e32 v2, v72, v102
	v_and_b32_e32 v3, 8, v30
	s_mov_b32 s17, exec_lo
	v_min_i32_e32 v112, v112, v2
	s_delay_alu instid0(VALU_DEP_2)
	v_cmpx_ne_u32_e32 0, v3
	s_cbranch_execz .LBB4_421
; %bb.400:                              ;   in Loop: Header=BB4_399 Depth=2
	s_wait_loadcnt_dscnt 0x1
	v_add_nc_u64_e32 v[4:5], 8, v[36:37]
	v_add_nc_u64_e32 v[2:3], 2, v[98:99]
	s_mov_b32 s29, exec_lo
	s_delay_alu instid0(VALU_DEP_1)
	v_cmpx_lt_u64_e64 v[4:5], v[2:3]
	s_cbranch_execz .LBB4_412
; %bb.401:                              ;   in Loop: Header=BB4_399 Depth=2
	v_and_b32_e32 v4, 64, v30
	s_mov_b32 s40, 0
	s_mov_b32 s44, 0
                                        ; implicit-def: $sgpr41
                                        ; implicit-def: $sgpr42
                                        ; implicit-def: $sgpr43
	s_delay_alu instid0(VALU_DEP_1)
	v_cmp_eq_u32_e32 vcc_lo, 0, v4
	s_branch .LBB4_405
.LBB4_402:                              ;   in Loop: Header=BB4_405 Depth=3
	s_wait_loadcnt_dscnt 0x0
	v_add_nc_u64_e32 v[114:115], 8, v[36:37]
	s_or_b32 s47, s47, exec_lo
	s_delay_alu instid0(VALU_DEP_1)
	v_cmp_ge_u64_e64 s13, v[114:115], v[2:3]
	s_or_not1_b32 s46, s13, exec_lo
.LBB4_403:                              ;   in Loop: Header=BB4_405 Depth=3
	s_or_b32 exec_lo, exec_lo, s57
	s_delay_alu instid0(SALU_CYCLE_1)
	s_and_not1_b32 s13, s43, exec_lo
	s_and_b32 s43, s47, exec_lo
	s_and_not1_b32 s42, s42, exec_lo
	s_and_b32 s46, s46, exec_lo
	s_or_b32 s43, s13, s43
	s_or_b32 s42, s42, s46
.LBB4_404:                              ;   in Loop: Header=BB4_405 Depth=3
	s_or_b32 exec_lo, exec_lo, s45
	s_delay_alu instid0(SALU_CYCLE_1) | instskip(NEXT) | instid1(SALU_CYCLE_1)
	s_and_b32 s13, exec_lo, s42
	s_or_b32 s40, s13, s40
	s_and_not1_b32 s13, s41, exec_lo
	s_and_b32 s41, s43, exec_lo
	s_delay_alu instid0(SALU_CYCLE_1)
	s_or_b32 s41, s13, s41
	s_and_not1_b32 exec_lo, exec_lo, s40
	s_cbranch_execz .LBB4_409
.LBB4_405:                              ;   Parent Loop BB4_73 Depth=1
                                        ;     Parent Loop BB4_399 Depth=2
                                        ; =>    This Inner Loop Header: Depth=3
	s_sleep 1
	s_wait_loadcnt_dscnt 0x0
	flat_load_b64 v[36:37], v[26:27] scope:SCOPE_SYS
	s_or_b32 s43, s43, exec_lo
	s_or_b32 s42, s42, exec_lo
                                        ; implicit-def: $vgpr4
	s_wait_xcnt 0x0
	s_and_saveexec_b32 s45, vcc_lo
	s_cbranch_execz .LBB4_404
; %bb.406:                              ;   in Loop: Header=BB4_405 Depth=3
	s_cmp_lt_i32 s44, 0x270f
	s_mov_b32 s46, -1
	s_cselect_b32 s56, -1, 0
	s_cmp_gt_i32 s44, 0x270e
	s_cbranch_scc0 .LBB4_408
; %bb.407:                              ;   in Loop: Header=BB4_405 Depth=3
	s_trap 2
	ds_load_b64 v[4:5], v0
	s_and_not1_b32 s44, s56, exec_lo
	s_mov_b32 s47, 0
	s_wait_storecnt 0x0
	s_wait_loadcnt_dscnt 0x0
	flat_load_b32 v4, v[4:5] scope:SCOPE_SYS
	s_wait_loadcnt_dscnt 0x0
	global_inv scope:SCOPE_SYS
	v_cmp_eq_u32_e64 s13, 0, v4
	s_and_b32 s13, s13, exec_lo
	s_delay_alu instid0(SALU_CYCLE_1)
	s_or_b32 s56, s44, s13
	s_mov_b32 s44, 0
	s_and_saveexec_b32 s57, s56
	s_cbranch_execz .LBB4_403
	s_branch .LBB4_402
.LBB4_408:                              ;   in Loop: Header=BB4_405 Depth=3
	s_add_co_i32 s44, s44, 1
	s_mov_b32 s47, -1
                                        ; implicit-def: $vgpr4
	s_and_saveexec_b32 s57, s56
	s_cbranch_execz .LBB4_403
	s_branch .LBB4_402
.LBB4_409:                              ;   in Loop: Header=BB4_399 Depth=2
	s_or_b32 exec_lo, exec_lo, s40
	s_xor_b32 s13, s41, -1
	s_delay_alu instid0(SALU_CYCLE_1) | instskip(NEXT) | instid1(SALU_CYCLE_1)
	s_and_saveexec_b32 s40, s13
	s_xor_b32 s13, exec_lo, s40
	s_cbranch_execz .LBB4_411
; %bb.410:                              ;   in Loop: Header=BB4_399 Depth=2
	v_or_b32_e32 v30, 64, v30
	s_wait_storecnt 0x0
	s_wait_loadcnt_dscnt 0x0
	ds_store_b32 v0, v4
	s_trap 2
.LBB4_411:                              ;   in Loop: Header=BB4_399 Depth=2
	s_or_b32 exec_lo, exec_lo, s13
.LBB4_412:                              ;   in Loop: Header=BB4_399 Depth=2
	s_delay_alu instid0(SALU_CYCLE_1) | instskip(SKIP_4) | instid1(VALU_DEP_2)
	s_or_b32 exec_lo, exec_lo, s29
	v_and_b32_e32 v4, 0x100, v30
	v_and_b32_e32 v48, 7, v98
	s_mov_b32 s13, -1
	;;#ASMSTART
	s_wakeup
	;;#ASMEND
	v_cmp_ne_u32_e32 vcc_lo, 0, v4
                                        ; implicit-def: $vgpr4_vgpr5
	s_and_saveexec_b32 s29, vcc_lo
	s_cbranch_execz .LBB4_416
; %bb.413:                              ;   in Loop: Header=BB4_399 Depth=2
	v_mad_nc_u64_u32 v[98:99], v48, 24, v[12:13]
	v_ashrrev_i32_e32 v113, 31, v112
	s_clause 0x1
	flat_load_b32 v4, v[98:99]
	flat_store_b64 v[98:99], v[112:113] offset:8
	s_wait_loadcnt_dscnt 0x1
	v_cmp_eq_u32_e64 s13, 1, v4
	v_cmp_ne_u32_e32 vcc_lo, 1, v4
                                        ; implicit-def: $vgpr4_vgpr5
	s_wait_xcnt 0x0
	s_and_saveexec_b32 s40, s13
	s_cbranch_execz .LBB4_415
; %bb.414:                              ;   in Loop: Header=BB4_399 Depth=2
	flat_load_b32 v4, v[98:99] offset:4 scope:SCOPE_SYS
	s_wait_loadcnt_dscnt 0x0
	v_ashrrev_i32_e32 v5, 31, v4
.LBB4_415:                              ;   in Loop: Header=BB4_399 Depth=2
	s_wait_xcnt 0x0
	s_or_b32 exec_lo, exec_lo, s40
	s_delay_alu instid0(SALU_CYCLE_1)
	s_or_not1_b32 s13, vcc_lo, exec_lo
.LBB4_416:                              ;   in Loop: Header=BB4_399 Depth=2
	s_or_b32 exec_lo, exec_lo, s29
	s_and_saveexec_b32 s29, s13
; %bb.417:                              ;   in Loop: Header=BB4_399 Depth=2
	v_mul_u64_e32 v[4:5], v[48:49], v[28:29]
; %bb.418:                              ;   in Loop: Header=BB4_399 Depth=2
	s_or_b32 exec_lo, exec_lo, s29
	s_delay_alu instid0(VALU_DEP_1)
	v_add_nc_u64_e32 v[4:5], v[32:33], v[4:5]
	v_and_b32_e32 v48, 0x2000, v30
	s_mov_b32 s13, exec_lo
	ds_store_b64 v0, v[4:5] offset:792
	v_cmpx_ne_u32_e32 0, v48
	s_cbranch_execz .LBB4_420
; %bb.419:                              ;   in Loop: Header=BB4_399 Depth=2
	ds_load_b64 v[4:5], v0 offset:872
	s_wait_dscnt 0x0
	v_add_nc_u64_e32 v[4:5], 1, v[4:5]
	ds_store_b64 v0, v[4:5] offset:872
.LBB4_420:                              ;   in Loop: Header=BB4_399 Depth=2
	s_or_b32 exec_lo, exec_lo, s13
	v_mov_b64_e32 v[98:99], v[2:3]
.LBB4_421:                              ;   in Loop: Header=BB4_399 Depth=2
	s_or_b32 exec_lo, exec_lo, s17
	s_xor_b32 s13, s16, -1
	s_delay_alu instid0(SALU_CYCLE_1) | instskip(NEXT) | instid1(SALU_CYCLE_1)
	s_and_b32 s13, exec_lo, s13
	s_or_b32 s15, s13, s15
	s_and_saveexec_b32 s13, s1
	s_cbranch_execz .LBB4_440
; %bb.422:                              ;   in Loop: Header=BB4_399 Depth=2
	s_and_saveexec_b32 s16, s2
	s_delay_alu instid0(SALU_CYCLE_1)
	s_xor_b32 s16, exec_lo, s16
	s_cbranch_execz .LBB4_437
; %bb.423:                              ;   in Loop: Header=BB4_399 Depth=2
	s_and_saveexec_b32 s17, s5
	s_cbranch_execz .LBB4_436
; %bb.424:                              ;   in Loop: Header=BB4_399 Depth=2
	s_mov_b32 s40, exec_lo
	s_mov_b32 s29, exec_lo
	v_mbcnt_lo_u32_b32 v2, s40, 0
	global_wb scope:SCOPE_DEV
	s_wait_storecnt 0x0
	s_wait_loadcnt_dscnt 0x0
	global_inv scope:SCOPE_DEV
	v_cmpx_eq_u32_e32 0, v2
	s_cbranch_execz .LBB4_426
; %bb.425:                              ;   in Loop: Header=BB4_399 Depth=2
	s_bcnt1_i32_b32 s40, s40
	s_delay_alu instid0(SALU_CYCLE_1)
	v_mov_b32_e32 v48, s40
	s_wait_loadcnt 0x0
	ds_add_u64 v0, v[48:49]
	s_trap 2
.LBB4_426:                              ;   in Loop: Header=BB4_399 Depth=2
	s_or_b32 exec_lo, exec_lo, s29
	s_trap 2
	ds_load_b64 v[2:3], v0
	s_wait_dscnt 0x0
	v_add_nc_u64_e32 v[14:15], v[14:15], v[50:51]
	s_mov_b32 s29, exec_lo
	s_delay_alu instid0(VALU_DEP_1)
	v_cmpx_lt_u64_e64 v[2:3], v[14:15]
	s_cbranch_execz .LBB4_435
; %bb.427:                              ;   in Loop: Header=BB4_399 Depth=2
	s_mov_b32 s40, 0
	s_mov_b32 s43, 0
                                        ; implicit-def: $sgpr41
                                        ; implicit-def: $sgpr42
	s_branch .LBB4_429
.LBB4_428:                              ;   in Loop: Header=BB4_429 Depth=3
	s_or_b32 exec_lo, exec_lo, s45
	s_delay_alu instid0(SALU_CYCLE_1) | instskip(NEXT) | instid1(SALU_CYCLE_1)
	s_and_b32 s44, exec_lo, s46
	s_or_b32 s40, s44, s40
	s_and_not1_b32 s41, s41, exec_lo
	s_and_b32 s44, s42, exec_lo
	s_delay_alu instid0(SALU_CYCLE_1)
	s_or_b32 s41, s41, s44
	s_and_not1_b32 exec_lo, exec_lo, s40
	s_cbranch_execz .LBB4_433
.LBB4_429:                              ;   Parent Loop BB4_73 Depth=1
                                        ;     Parent Loop BB4_399 Depth=2
                                        ; =>    This Inner Loop Header: Depth=3
	s_add_co_i32 s43, s43, 1
	s_delay_alu instid0(SALU_CYCLE_1) | instskip(SKIP_1) | instid1(SALU_CYCLE_1)
	s_cmp_lg_u32 s43, 0x2710
	s_cselect_b32 s44, -1, 0
	s_and_b32 vcc_lo, exec_lo, s44
	s_cbranch_vccz .LBB4_431
; %bb.430:                              ;   in Loop: Header=BB4_429 Depth=3
	s_mov_b32 s46, -1
	s_or_b32 s42, s42, exec_lo
	s_and_saveexec_b32 s45, s44
	s_cbranch_execz .LBB4_428
	s_branch .LBB4_432
.LBB4_431:                              ;   in Loop: Header=BB4_429 Depth=3
	s_trap 2
	ds_load_b64 v[2:3], v0
	s_and_not1_b32 s44, s44, exec_lo
	s_mov_b32 s43, 0
	s_wait_loadcnt_dscnt 0x0
	flat_load_b32 v2, v[2:3] scope:SCOPE_SYS
	s_wait_loadcnt_dscnt 0x0
	global_inv scope:SCOPE_SYS
	v_cmp_eq_u32_e32 vcc_lo, 0, v2
	s_and_b32 s45, vcc_lo, exec_lo
	s_delay_alu instid0(SALU_CYCLE_1)
	s_or_b32 s44, s44, s45
	s_mov_b32 s46, -1
	s_or_b32 s42, s42, exec_lo
	s_and_saveexec_b32 s45, s44
	s_cbranch_execz .LBB4_428
.LBB4_432:                              ;   in Loop: Header=BB4_429 Depth=3
	s_sleep 1
	s_trap 2
	ds_load_b64 v[2:3], v0
	s_wait_dscnt 0x0
	s_and_not1_b32 s42, s42, exec_lo
	v_cmp_ge_u64_e32 vcc_lo, v[2:3], v[14:15]
	s_or_not1_b32 s46, vcc_lo, exec_lo
	s_branch .LBB4_428
.LBB4_433:                              ;   in Loop: Header=BB4_399 Depth=2
	s_or_b32 exec_lo, exec_lo, s40
	s_and_saveexec_b32 s40, s41
	s_delay_alu instid0(SALU_CYCLE_1)
	s_xor_b32 s40, exec_lo, s40
	s_cbranch_execz .LBB4_435
; %bb.434:                              ;   in Loop: Header=BB4_399 Depth=2
	ds_store_b32 v0, v58
	s_trap 2
.LBB4_435:                              ;   in Loop: Header=BB4_399 Depth=2
	s_or_b32 exec_lo, exec_lo, s29
	;;#ASMSTART
	s_wakeup
	;;#ASMEND
.LBB4_436:                              ;   in Loop: Header=BB4_399 Depth=2
	s_or_b32 exec_lo, exec_lo, s17
.LBB4_437:                              ;   in Loop: Header=BB4_399 Depth=2
	s_and_not1_saveexec_b32 s16, s16
	s_cbranch_execz .LBB4_439
; %bb.438:                              ;   in Loop: Header=BB4_399 Depth=2
	global_wb scope:SCOPE_DEV
	s_wait_storecnt 0x0
	s_wait_loadcnt_dscnt 0x0
	global_inv scope:SCOPE_DEV
	s_barrier_signal -1
	s_barrier_wait -1
.LBB4_439:                              ;   in Loop: Header=BB4_399 Depth=2
	s_or_b32 exec_lo, exec_lo, s16
.LBB4_440:                              ;   in Loop: Header=BB4_399 Depth=2
	s_delay_alu instid0(SALU_CYCLE_1) | instskip(SKIP_1) | instid1(SALU_CYCLE_1)
	s_or_b32 exec_lo, exec_lo, s13
                                        ; implicit-def: $vgpr2
	s_and_saveexec_b32 s13, s7
	s_xor_b32 s16, exec_lo, s13
	s_cbranch_execz .LBB4_444
; %bb.441:                              ;   in Loop: Header=BB4_399 Depth=2
	s_trap 2
	ds_load_b32 v2, v0
	v_cmp_lt_i32_e32 vcc_lo, 0, v112
	s_wait_dscnt 0x0
	v_readfirstlane_b32 s13, v2
	v_and_b32_e32 v2, 16, v30
	s_cmp_eq_u32 s13, 0
	s_delay_alu instid0(VALU_DEP_1) | instskip(SKIP_3) | instid1(SALU_CYCLE_1)
	v_cmp_ne_u32_e64 s13, 0, v2
	s_cselect_b32 s17, -1, 0
	v_and_b32_e32 v2, 16, v30
	s_and_b32 s17, vcc_lo, s17
	s_and_b32 s17, s13, s17
	s_delay_alu instid0(SALU_CYCLE_1)
	s_and_saveexec_b32 s13, s17
	s_cbranch_execz .LBB4_443
; %bb.442:                              ;   in Loop: Header=BB4_399 Depth=2
	v_mov_b32_e32 v2, 1
	global_wb scope:SCOPE_SYS
	s_wait_loadcnt 0x0
	s_wait_storecnt 0x0
	global_inv scope:SCOPE_SYS
.LBB4_443:                              ;   in Loop: Header=BB4_399 Depth=2
	s_or_b32 exec_lo, exec_lo, s13
	s_and_not1_saveexec_b32 s13, s16
	s_cbranch_execz .LBB4_463
	s_branch .LBB4_445
.LBB4_444:                              ;   in Loop: Header=BB4_399 Depth=2
	s_and_not1_saveexec_b32 s13, s16
	s_cbranch_execz .LBB4_463
.LBB4_445:                              ;   in Loop: Header=BB4_399 Depth=2
	s_and_saveexec_b32 s16, s2
	s_delay_alu instid0(SALU_CYCLE_1)
	s_xor_b32 s16, exec_lo, s16
	s_cbranch_execz .LBB4_460
; %bb.446:                              ;   in Loop: Header=BB4_399 Depth=2
	s_and_saveexec_b32 s17, s5
	s_cbranch_execz .LBB4_459
; %bb.447:                              ;   in Loop: Header=BB4_399 Depth=2
	s_mov_b32 s40, exec_lo
	s_mov_b32 s29, exec_lo
	v_mbcnt_lo_u32_b32 v2, s40, 0
	;;#ASMSTART
	s_waitcnt lgkmcnt(0) vmcnt(0)
	;;#ASMEND
	s_delay_alu instid0(VALU_DEP_1)
	v_cmpx_eq_u32_e32 0, v2
	s_cbranch_execz .LBB4_449
; %bb.448:                              ;   in Loop: Header=BB4_399 Depth=2
	s_bcnt1_i32_b32 s40, s40
	s_delay_alu instid0(SALU_CYCLE_1)
	v_mov_b32_e32 v48, s40
	s_wait_storecnt 0x0
	s_wait_loadcnt_dscnt 0x0
	ds_add_u64 v0, v[48:49]
	s_trap 2
.LBB4_449:                              ;   in Loop: Header=BB4_399 Depth=2
	s_or_b32 exec_lo, exec_lo, s29
	s_trap 2
	ds_load_b64 v[2:3], v0
	s_wait_dscnt 0x0
	v_add_nc_u64_e32 v[14:15], v[14:15], v[50:51]
	s_mov_b32 s29, exec_lo
	s_delay_alu instid0(VALU_DEP_1)
	v_cmpx_lt_u64_e64 v[2:3], v[14:15]
	s_cbranch_execz .LBB4_458
; %bb.450:                              ;   in Loop: Header=BB4_399 Depth=2
	s_mov_b32 s40, 0
	s_mov_b32 s43, 0
                                        ; implicit-def: $sgpr41
                                        ; implicit-def: $sgpr42
	s_branch .LBB4_452
.LBB4_451:                              ;   in Loop: Header=BB4_452 Depth=3
	s_or_b32 exec_lo, exec_lo, s45
	s_delay_alu instid0(SALU_CYCLE_1) | instskip(NEXT) | instid1(SALU_CYCLE_1)
	s_and_b32 s44, exec_lo, s46
	s_or_b32 s40, s44, s40
	s_and_not1_b32 s41, s41, exec_lo
	s_and_b32 s44, s42, exec_lo
	s_delay_alu instid0(SALU_CYCLE_1)
	s_or_b32 s41, s41, s44
	s_and_not1_b32 exec_lo, exec_lo, s40
	s_cbranch_execz .LBB4_456
.LBB4_452:                              ;   Parent Loop BB4_73 Depth=1
                                        ;     Parent Loop BB4_399 Depth=2
                                        ; =>    This Inner Loop Header: Depth=3
	s_add_co_i32 s43, s43, 1
	s_delay_alu instid0(SALU_CYCLE_1) | instskip(SKIP_1) | instid1(SALU_CYCLE_1)
	s_cmp_lg_u32 s43, 0x2710
	s_cselect_b32 s44, -1, 0
	s_and_b32 vcc_lo, exec_lo, s44
	s_cbranch_vccz .LBB4_454
; %bb.453:                              ;   in Loop: Header=BB4_452 Depth=3
	s_mov_b32 s46, -1
	s_or_b32 s42, s42, exec_lo
	s_and_saveexec_b32 s45, s44
	s_cbranch_execz .LBB4_451
	s_branch .LBB4_455
.LBB4_454:                              ;   in Loop: Header=BB4_452 Depth=3
	s_trap 2
	ds_load_b64 v[2:3], v0
	s_and_not1_b32 s44, s44, exec_lo
	s_mov_b32 s43, 0
	s_wait_storecnt 0x0
	s_wait_loadcnt_dscnt 0x0
	flat_load_b32 v2, v[2:3] scope:SCOPE_SYS
	s_wait_loadcnt_dscnt 0x0
	global_inv scope:SCOPE_SYS
	v_cmp_eq_u32_e32 vcc_lo, 0, v2
	s_and_b32 s45, vcc_lo, exec_lo
	s_delay_alu instid0(SALU_CYCLE_1)
	s_or_b32 s44, s44, s45
	s_mov_b32 s46, -1
	s_or_b32 s42, s42, exec_lo
	s_and_saveexec_b32 s45, s44
	s_cbranch_execz .LBB4_451
.LBB4_455:                              ;   in Loop: Header=BB4_452 Depth=3
	s_sleep 1
	s_trap 2
	ds_load_b64 v[2:3], v0
	s_wait_dscnt 0x0
	s_and_not1_b32 s42, s42, exec_lo
	v_cmp_ge_u64_e32 vcc_lo, v[2:3], v[14:15]
	s_or_not1_b32 s46, vcc_lo, exec_lo
	s_branch .LBB4_451
.LBB4_456:                              ;   in Loop: Header=BB4_399 Depth=2
	s_or_b32 exec_lo, exec_lo, s40
	s_and_saveexec_b32 s40, s41
	s_delay_alu instid0(SALU_CYCLE_1)
	s_xor_b32 s40, exec_lo, s40
	s_cbranch_execz .LBB4_458
; %bb.457:                              ;   in Loop: Header=BB4_399 Depth=2
	ds_store_b32 v0, v58
	s_trap 2
.LBB4_458:                              ;   in Loop: Header=BB4_399 Depth=2
	s_or_b32 exec_lo, exec_lo, s29
	;;#ASMSTART
	s_wakeup
	;;#ASMEND
.LBB4_459:                              ;   in Loop: Header=BB4_399 Depth=2
	s_or_b32 exec_lo, exec_lo, s17
.LBB4_460:                              ;   in Loop: Header=BB4_399 Depth=2
	s_and_not1_saveexec_b32 s16, s16
	s_cbranch_execz .LBB4_462
; %bb.461:                              ;   in Loop: Header=BB4_399 Depth=2
	;;#ASMSTART
	s_waitcnt lgkmcnt(0) vmcnt(0)
	;;#ASMEND
	s_barrier_signal -1
	s_barrier_wait -1
.LBB4_462:                              ;   in Loop: Header=BB4_399 Depth=2
	s_or_b32 exec_lo, exec_lo, s16
	v_and_b32_e32 v2, 16, v30
.LBB4_463:                              ;   in Loop: Header=BB4_399 Depth=2
	s_or_b32 exec_lo, exec_lo, s13
	s_delay_alu instid0(SALU_CYCLE_1) | instskip(NEXT) | instid1(VALU_DEP_1)
	s_mov_b32 s13, exec_lo
	v_cmpx_ne_u32_e32 0, v2
	s_cbranch_execz .LBB4_398
; %bb.464:                              ;   in Loop: Header=BB4_399 Depth=2
	s_and_saveexec_b32 s16, s4
	s_cbranch_execz .LBB4_397
; %bb.465:                              ;   in Loop: Header=BB4_399 Depth=2
	global_wb scope:SCOPE_SYS
	s_wait_storecnt 0x0
	s_wait_loadcnt_dscnt 0x0
	flat_store_b32 v[34:35], v58 scope:SCOPE_SYS
	s_branch .LBB4_397
.LBB4_466:                              ;   in Loop: Header=BB4_73 Depth=1
	s_or_b32 exec_lo, exec_lo, s16
.LBB4_467:                              ;   in Loop: Header=BB4_73 Depth=1
	s_delay_alu instid0(SALU_CYCLE_1) | instskip(NEXT) | instid1(SALU_CYCLE_1)
	s_or_b32 exec_lo, exec_lo, s15
	s_mov_b32 s15, exec_lo
	v_cmpx_gt_i32_e32 2, v3
	s_cbranch_execz .LBB4_542
; %bb.468:                              ;   in Loop: Header=BB4_73 Depth=1
	v_cmp_eq_u32_e64 s17, 0, v3
	s_mov_b32 s16, 0
	s_branch .LBB4_471
.LBB4_469:                              ;   in Loop: Header=BB4_471 Depth=2
	s_wait_xcnt 0x0
	s_or_b32 exec_lo, exec_lo, s17
	v_add_nc_u64_e32 v[98:99], 2, v[98:99]
	global_wb scope:SCOPE_SYS
	s_wait_storecnt 0x0
	s_wait_loadcnt_dscnt 0x0
	flat_store_b64 v[26:27], v[98:99] scope:SCOPE_SYS
.LBB4_470:                              ;   in Loop: Header=BB4_471 Depth=2
	s_wait_xcnt 0x0
	s_or_b32 exec_lo, exec_lo, s13
	v_add_nc_u32_e32 v2, v4, v2
	s_mov_b32 s17, 0
	s_and_not1_b32 exec_lo, exec_lo, s16
	s_cbranch_execz .LBB4_541
.LBB4_471:                              ;   Parent Loop BB4_73 Depth=1
                                        ; =>  This Loop Header: Depth=2
                                        ;       Child Loop BB4_477 Depth 3
                                        ;       Child Loop BB4_501 Depth 3
	;; [unrolled: 1-line block ×3, first 2 shown]
	s_delay_alu instid0(VALU_DEP_1) | instskip(SKIP_2) | instid1(VALU_DEP_2)
	v_sub_nc_u32_e32 v3, v72, v2
	v_and_b32_e32 v5, 8, v30
	s_mov_b32 s28, exec_lo
	v_min_i32_e32 v4, v4, v3
	s_delay_alu instid0(VALU_DEP_2)
	v_cmpx_ne_u32_e32 0, v5
	s_cbranch_execz .LBB4_493
; %bb.472:                              ;   in Loop: Header=BB4_471 Depth=2
	s_wait_loadcnt_dscnt 0x1
	v_add_nc_u64_e32 v[112:113], 8, v[36:37]
	v_add_nc_u64_e32 v[102:103], 2, v[98:99]
	s_mov_b32 s29, exec_lo
	s_delay_alu instid0(VALU_DEP_1)
	v_cmpx_lt_u64_e64 v[112:113], v[102:103]
	s_cbranch_execz .LBB4_484
; %bb.473:                              ;   in Loop: Header=BB4_471 Depth=2
	v_and_b32_e32 v3, 64, v30
	s_mov_b32 s40, 0
	s_mov_b32 s44, 0
                                        ; implicit-def: $sgpr41
                                        ; implicit-def: $sgpr42
                                        ; implicit-def: $sgpr43
	s_delay_alu instid0(VALU_DEP_1)
	v_cmp_eq_u32_e32 vcc_lo, 0, v3
	s_branch .LBB4_477
.LBB4_474:                              ;   in Loop: Header=BB4_477 Depth=3
	s_wait_loadcnt_dscnt 0x0
	v_add_nc_u64_e32 v[112:113], 8, v[36:37]
	s_or_b32 s47, s47, exec_lo
	s_delay_alu instid0(VALU_DEP_1)
	v_cmp_ge_u64_e64 s13, v[112:113], v[102:103]
	s_or_not1_b32 s46, s13, exec_lo
.LBB4_475:                              ;   in Loop: Header=BB4_477 Depth=3
	s_or_b32 exec_lo, exec_lo, s57
	s_delay_alu instid0(SALU_CYCLE_1)
	s_and_not1_b32 s13, s43, exec_lo
	s_and_b32 s43, s47, exec_lo
	s_and_not1_b32 s42, s42, exec_lo
	s_and_b32 s46, s46, exec_lo
	s_or_b32 s43, s13, s43
	s_or_b32 s42, s42, s46
.LBB4_476:                              ;   in Loop: Header=BB4_477 Depth=3
	s_or_b32 exec_lo, exec_lo, s45
	s_delay_alu instid0(SALU_CYCLE_1) | instskip(NEXT) | instid1(SALU_CYCLE_1)
	s_and_b32 s13, exec_lo, s42
	s_or_b32 s40, s13, s40
	s_and_not1_b32 s13, s41, exec_lo
	s_and_b32 s41, s43, exec_lo
	s_delay_alu instid0(SALU_CYCLE_1)
	s_or_b32 s41, s13, s41
	s_and_not1_b32 exec_lo, exec_lo, s40
	s_cbranch_execz .LBB4_481
.LBB4_477:                              ;   Parent Loop BB4_73 Depth=1
                                        ;     Parent Loop BB4_471 Depth=2
                                        ; =>    This Inner Loop Header: Depth=3
	s_sleep 1
	s_wait_loadcnt_dscnt 0x0
	flat_load_b64 v[36:37], v[26:27] scope:SCOPE_SYS
	s_or_b32 s43, s43, exec_lo
	s_or_b32 s42, s42, exec_lo
                                        ; implicit-def: $vgpr3
	s_wait_xcnt 0x0
	s_and_saveexec_b32 s45, vcc_lo
	s_cbranch_execz .LBB4_476
; %bb.478:                              ;   in Loop: Header=BB4_477 Depth=3
	s_cmp_lt_i32 s44, 0x270f
	s_mov_b32 s46, -1
	s_cselect_b32 s56, -1, 0
	s_cmp_gt_i32 s44, 0x270e
	s_cbranch_scc0 .LBB4_480
; %bb.479:                              ;   in Loop: Header=BB4_477 Depth=3
	s_trap 2
	ds_load_b64 v[112:113], v0
	s_and_not1_b32 s44, s56, exec_lo
	s_mov_b32 s47, 0
	s_wait_storecnt 0x0
	s_wait_loadcnt_dscnt 0x0
	flat_load_b32 v3, v[112:113] scope:SCOPE_SYS
	s_wait_loadcnt_dscnt 0x0
	global_inv scope:SCOPE_SYS
	v_cmp_eq_u32_e64 s13, 0, v3
	s_and_b32 s13, s13, exec_lo
	s_delay_alu instid0(SALU_CYCLE_1)
	s_or_b32 s56, s44, s13
	s_mov_b32 s44, 0
	s_and_saveexec_b32 s57, s56
	s_cbranch_execz .LBB4_475
	s_branch .LBB4_474
.LBB4_480:                              ;   in Loop: Header=BB4_477 Depth=3
	s_add_co_i32 s44, s44, 1
	s_mov_b32 s47, -1
                                        ; implicit-def: $vgpr3
	s_and_saveexec_b32 s57, s56
	s_cbranch_execz .LBB4_475
	s_branch .LBB4_474
.LBB4_481:                              ;   in Loop: Header=BB4_471 Depth=2
	s_or_b32 exec_lo, exec_lo, s40
	s_xor_b32 s13, s41, -1
	s_delay_alu instid0(SALU_CYCLE_1) | instskip(NEXT) | instid1(SALU_CYCLE_1)
	s_and_saveexec_b32 s40, s13
	s_xor_b32 s13, exec_lo, s40
	s_cbranch_execz .LBB4_483
; %bb.482:                              ;   in Loop: Header=BB4_471 Depth=2
	v_or_b32_e32 v30, 64, v30
	s_wait_storecnt 0x0
	s_wait_loadcnt_dscnt 0x0
	ds_store_b32 v0, v3
	s_trap 2
.LBB4_483:                              ;   in Loop: Header=BB4_471 Depth=2
	s_or_b32 exec_lo, exec_lo, s13
.LBB4_484:                              ;   in Loop: Header=BB4_471 Depth=2
	s_delay_alu instid0(SALU_CYCLE_1)
	s_or_b32 exec_lo, exec_lo, s29
	v_and_b32_e32 v3, 0x100, v30
	v_and_b32_e32 v48, 7, v98
	s_mov_b32 s13, -1
	s_mov_b32 s29, exec_lo
	;;#ASMSTART
	s_wakeup
	;;#ASMEND
                                        ; implicit-def: $vgpr98_vgpr99
	v_cmpx_ne_u32_e32 0, v3
	s_cbranch_execz .LBB4_488
; %bb.485:                              ;   in Loop: Header=BB4_471 Depth=2
	v_mad_nc_u64_u32 v[112:113], v48, 24, v[12:13]
	v_ashrrev_i32_e32 v5, 31, v4
	s_mov_b32 s40, exec_lo
                                        ; implicit-def: $vgpr98_vgpr99
	s_clause 0x1
	flat_load_b32 v3, v[112:113]
	flat_store_b64 v[112:113], v[4:5] offset:8
	s_wait_loadcnt_dscnt 0x1
	v_cmp_ne_u32_e32 vcc_lo, 1, v3
	s_wait_xcnt 0x0
	v_cmpx_eq_u32_e32 1, v3
	s_cbranch_execz .LBB4_487
; %bb.486:                              ;   in Loop: Header=BB4_471 Depth=2
	flat_load_b32 v98, v[112:113] offset:4 scope:SCOPE_SYS
	s_wait_loadcnt_dscnt 0x0
	v_ashrrev_i32_e32 v99, 31, v98
.LBB4_487:                              ;   in Loop: Header=BB4_471 Depth=2
	s_wait_xcnt 0x0
	s_or_b32 exec_lo, exec_lo, s40
	s_delay_alu instid0(SALU_CYCLE_1)
	s_or_not1_b32 s13, vcc_lo, exec_lo
.LBB4_488:                              ;   in Loop: Header=BB4_471 Depth=2
	s_or_b32 exec_lo, exec_lo, s29
	s_and_saveexec_b32 s29, s13
; %bb.489:                              ;   in Loop: Header=BB4_471 Depth=2
	v_mul_u64_e32 v[98:99], v[48:49], v[28:29]
; %bb.490:                              ;   in Loop: Header=BB4_471 Depth=2
	s_or_b32 exec_lo, exec_lo, s29
	s_delay_alu instid0(VALU_DEP_1)
	v_add_nc_u64_e32 v[98:99], v[32:33], v[98:99]
	v_and_b32_e32 v3, 0x2000, v30
	s_mov_b32 s13, exec_lo
	ds_store_b64 v0, v[98:99] offset:784
	v_cmpx_ne_u32_e32 0, v3
	s_cbranch_execz .LBB4_492
; %bb.491:                              ;   in Loop: Header=BB4_471 Depth=2
	ds_load_b64 v[98:99], v0 offset:872
	s_wait_dscnt 0x0
	v_add_nc_u64_e32 v[98:99], 1, v[98:99]
	ds_store_b64 v0, v[98:99] offset:872
.LBB4_492:                              ;   in Loop: Header=BB4_471 Depth=2
	s_or_b32 exec_lo, exec_lo, s13
	v_mov_b64_e32 v[98:99], v[102:103]
.LBB4_493:                              ;   in Loop: Header=BB4_471 Depth=2
	s_or_b32 exec_lo, exec_lo, s28
	s_xor_b32 s13, s17, -1
	s_delay_alu instid0(SALU_CYCLE_1) | instskip(NEXT) | instid1(SALU_CYCLE_1)
	s_and_b32 s13, exec_lo, s13
	s_or_b32 s16, s13, s16
	s_and_saveexec_b32 s13, s1
	s_cbranch_execz .LBB4_512
; %bb.494:                              ;   in Loop: Header=BB4_471 Depth=2
	s_and_saveexec_b32 s17, s2
	s_delay_alu instid0(SALU_CYCLE_1)
	s_xor_b32 s17, exec_lo, s17
	s_cbranch_execz .LBB4_509
; %bb.495:                              ;   in Loop: Header=BB4_471 Depth=2
	s_and_saveexec_b32 s28, s5
	s_cbranch_execz .LBB4_508
; %bb.496:                              ;   in Loop: Header=BB4_471 Depth=2
	s_mov_b32 s40, exec_lo
	s_mov_b32 s29, exec_lo
	v_mbcnt_lo_u32_b32 v3, s40, 0
	global_wb scope:SCOPE_DEV
	s_wait_storecnt 0x0
	s_wait_loadcnt_dscnt 0x0
	global_inv scope:SCOPE_DEV
	v_cmpx_eq_u32_e32 0, v3
	s_cbranch_execz .LBB4_498
; %bb.497:                              ;   in Loop: Header=BB4_471 Depth=2
	s_bcnt1_i32_b32 s40, s40
	s_delay_alu instid0(SALU_CYCLE_1)
	v_mov_b32_e32 v48, s40
	s_wait_loadcnt 0x0
	ds_add_u64 v0, v[48:49]
	s_trap 2
.LBB4_498:                              ;   in Loop: Header=BB4_471 Depth=2
	s_or_b32 exec_lo, exec_lo, s29
	s_trap 2
	ds_load_b64 v[102:103], v0
	s_wait_dscnt 0x0
	v_add_nc_u64_e32 v[14:15], v[14:15], v[50:51]
	s_mov_b32 s29, exec_lo
	s_delay_alu instid0(VALU_DEP_1)
	v_cmpx_lt_u64_e64 v[102:103], v[14:15]
	s_cbranch_execz .LBB4_507
; %bb.499:                              ;   in Loop: Header=BB4_471 Depth=2
	s_mov_b32 s40, 0
	s_mov_b32 s43, 0
                                        ; implicit-def: $sgpr41
                                        ; implicit-def: $sgpr42
	s_branch .LBB4_501
.LBB4_500:                              ;   in Loop: Header=BB4_501 Depth=3
	s_or_b32 exec_lo, exec_lo, s45
	s_delay_alu instid0(SALU_CYCLE_1) | instskip(NEXT) | instid1(SALU_CYCLE_1)
	s_and_b32 s44, exec_lo, s46
	s_or_b32 s40, s44, s40
	s_and_not1_b32 s41, s41, exec_lo
	s_and_b32 s44, s42, exec_lo
	s_delay_alu instid0(SALU_CYCLE_1)
	s_or_b32 s41, s41, s44
	s_and_not1_b32 exec_lo, exec_lo, s40
	s_cbranch_execz .LBB4_505
.LBB4_501:                              ;   Parent Loop BB4_73 Depth=1
                                        ;     Parent Loop BB4_471 Depth=2
                                        ; =>    This Inner Loop Header: Depth=3
	s_add_co_i32 s43, s43, 1
	s_delay_alu instid0(SALU_CYCLE_1) | instskip(SKIP_1) | instid1(SALU_CYCLE_1)
	s_cmp_lg_u32 s43, 0x2710
	s_cselect_b32 s44, -1, 0
	s_and_b32 vcc_lo, exec_lo, s44
	s_cbranch_vccz .LBB4_503
; %bb.502:                              ;   in Loop: Header=BB4_501 Depth=3
	s_mov_b32 s46, -1
	s_or_b32 s42, s42, exec_lo
	s_and_saveexec_b32 s45, s44
	s_cbranch_execz .LBB4_500
	s_branch .LBB4_504
.LBB4_503:                              ;   in Loop: Header=BB4_501 Depth=3
	s_trap 2
	ds_load_b64 v[102:103], v0
	s_and_not1_b32 s44, s44, exec_lo
	s_mov_b32 s43, 0
	s_wait_loadcnt_dscnt 0x0
	flat_load_b32 v3, v[102:103] scope:SCOPE_SYS
	s_wait_loadcnt_dscnt 0x0
	global_inv scope:SCOPE_SYS
	v_cmp_eq_u32_e32 vcc_lo, 0, v3
	s_and_b32 s45, vcc_lo, exec_lo
	s_delay_alu instid0(SALU_CYCLE_1)
	s_or_b32 s44, s44, s45
	s_mov_b32 s46, -1
	s_or_b32 s42, s42, exec_lo
	s_and_saveexec_b32 s45, s44
	s_cbranch_execz .LBB4_500
.LBB4_504:                              ;   in Loop: Header=BB4_501 Depth=3
	s_sleep 1
	s_trap 2
	ds_load_b64 v[102:103], v0
	s_wait_dscnt 0x0
	s_and_not1_b32 s42, s42, exec_lo
	v_cmp_ge_u64_e32 vcc_lo, v[102:103], v[14:15]
	s_or_not1_b32 s46, vcc_lo, exec_lo
	s_branch .LBB4_500
.LBB4_505:                              ;   in Loop: Header=BB4_471 Depth=2
	s_or_b32 exec_lo, exec_lo, s40
	s_and_saveexec_b32 s40, s41
	s_delay_alu instid0(SALU_CYCLE_1)
	s_xor_b32 s40, exec_lo, s40
	s_cbranch_execz .LBB4_507
; %bb.506:                              ;   in Loop: Header=BB4_471 Depth=2
	ds_store_b32 v0, v58
	s_trap 2
.LBB4_507:                              ;   in Loop: Header=BB4_471 Depth=2
	s_or_b32 exec_lo, exec_lo, s29
	;;#ASMSTART
	s_wakeup
	;;#ASMEND
.LBB4_508:                              ;   in Loop: Header=BB4_471 Depth=2
	s_or_b32 exec_lo, exec_lo, s28
.LBB4_509:                              ;   in Loop: Header=BB4_471 Depth=2
	s_and_not1_saveexec_b32 s17, s17
	s_cbranch_execz .LBB4_511
; %bb.510:                              ;   in Loop: Header=BB4_471 Depth=2
	global_wb scope:SCOPE_DEV
	s_wait_storecnt 0x0
	s_wait_loadcnt_dscnt 0x0
	global_inv scope:SCOPE_DEV
	s_barrier_signal -1
	s_barrier_wait -1
.LBB4_511:                              ;   in Loop: Header=BB4_471 Depth=2
	s_or_b32 exec_lo, exec_lo, s17
.LBB4_512:                              ;   in Loop: Header=BB4_471 Depth=2
	s_delay_alu instid0(SALU_CYCLE_1) | instskip(SKIP_1) | instid1(SALU_CYCLE_1)
	s_or_b32 exec_lo, exec_lo, s13
                                        ; implicit-def: $vgpr3
	s_and_saveexec_b32 s13, s7
	s_xor_b32 s17, exec_lo, s13
	s_cbranch_execz .LBB4_516
; %bb.513:                              ;   in Loop: Header=BB4_471 Depth=2
	s_trap 2
	ds_load_b32 v3, v0
	v_cmp_lt_i32_e32 vcc_lo, 0, v4
	s_wait_dscnt 0x0
	v_readfirstlane_b32 s13, v3
	v_and_b32_e32 v3, 16, v30
	s_cmp_eq_u32 s13, 0
	s_delay_alu instid0(VALU_DEP_1) | instskip(SKIP_3) | instid1(SALU_CYCLE_1)
	v_cmp_ne_u32_e64 s13, 0, v3
	s_cselect_b32 s28, -1, 0
	v_and_b32_e32 v3, 16, v30
	s_and_b32 s28, vcc_lo, s28
	s_and_b32 s28, s13, s28
	s_delay_alu instid0(SALU_CYCLE_1)
	s_and_saveexec_b32 s13, s28
	s_cbranch_execz .LBB4_515
; %bb.514:                              ;   in Loop: Header=BB4_471 Depth=2
	v_mov_b32_e32 v3, 1
	global_wb scope:SCOPE_SYS
	s_wait_loadcnt 0x0
	s_wait_storecnt 0x0
	global_inv scope:SCOPE_SYS
.LBB4_515:                              ;   in Loop: Header=BB4_471 Depth=2
	s_or_b32 exec_lo, exec_lo, s13
	s_and_not1_saveexec_b32 s13, s17
	s_cbranch_execz .LBB4_535
	s_branch .LBB4_517
.LBB4_516:                              ;   in Loop: Header=BB4_471 Depth=2
	s_and_not1_saveexec_b32 s13, s17
	s_cbranch_execz .LBB4_535
.LBB4_517:                              ;   in Loop: Header=BB4_471 Depth=2
	s_and_saveexec_b32 s17, s2
	s_delay_alu instid0(SALU_CYCLE_1)
	s_xor_b32 s17, exec_lo, s17
	s_cbranch_execz .LBB4_532
; %bb.518:                              ;   in Loop: Header=BB4_471 Depth=2
	s_and_saveexec_b32 s28, s5
	s_cbranch_execz .LBB4_531
; %bb.519:                              ;   in Loop: Header=BB4_471 Depth=2
	s_mov_b32 s40, exec_lo
	s_mov_b32 s29, exec_lo
	v_mbcnt_lo_u32_b32 v3, s40, 0
	;;#ASMSTART
	s_waitcnt lgkmcnt(0) vmcnt(0)
	;;#ASMEND
	s_delay_alu instid0(VALU_DEP_1)
	v_cmpx_eq_u32_e32 0, v3
	s_cbranch_execz .LBB4_521
; %bb.520:                              ;   in Loop: Header=BB4_471 Depth=2
	s_bcnt1_i32_b32 s40, s40
	s_delay_alu instid0(SALU_CYCLE_1)
	v_mov_b32_e32 v48, s40
	s_wait_storecnt 0x0
	s_wait_loadcnt_dscnt 0x0
	ds_add_u64 v0, v[48:49]
	s_trap 2
.LBB4_521:                              ;   in Loop: Header=BB4_471 Depth=2
	s_or_b32 exec_lo, exec_lo, s29
	s_trap 2
	ds_load_b64 v[102:103], v0
	s_wait_dscnt 0x0
	v_add_nc_u64_e32 v[14:15], v[14:15], v[50:51]
	s_mov_b32 s29, exec_lo
	s_delay_alu instid0(VALU_DEP_1)
	v_cmpx_lt_u64_e64 v[102:103], v[14:15]
	s_cbranch_execz .LBB4_530
; %bb.522:                              ;   in Loop: Header=BB4_471 Depth=2
	s_mov_b32 s40, 0
	s_mov_b32 s43, 0
                                        ; implicit-def: $sgpr41
                                        ; implicit-def: $sgpr42
	s_branch .LBB4_524
.LBB4_523:                              ;   in Loop: Header=BB4_524 Depth=3
	s_or_b32 exec_lo, exec_lo, s45
	s_delay_alu instid0(SALU_CYCLE_1) | instskip(NEXT) | instid1(SALU_CYCLE_1)
	s_and_b32 s44, exec_lo, s46
	s_or_b32 s40, s44, s40
	s_and_not1_b32 s41, s41, exec_lo
	s_and_b32 s44, s42, exec_lo
	s_delay_alu instid0(SALU_CYCLE_1)
	s_or_b32 s41, s41, s44
	s_and_not1_b32 exec_lo, exec_lo, s40
	s_cbranch_execz .LBB4_528
.LBB4_524:                              ;   Parent Loop BB4_73 Depth=1
                                        ;     Parent Loop BB4_471 Depth=2
                                        ; =>    This Inner Loop Header: Depth=3
	s_add_co_i32 s43, s43, 1
	s_delay_alu instid0(SALU_CYCLE_1) | instskip(SKIP_1) | instid1(SALU_CYCLE_1)
	s_cmp_lg_u32 s43, 0x2710
	s_cselect_b32 s44, -1, 0
	s_and_b32 vcc_lo, exec_lo, s44
	s_cbranch_vccz .LBB4_526
; %bb.525:                              ;   in Loop: Header=BB4_524 Depth=3
	s_mov_b32 s46, -1
	s_or_b32 s42, s42, exec_lo
	s_and_saveexec_b32 s45, s44
	s_cbranch_execz .LBB4_523
	s_branch .LBB4_527
.LBB4_526:                              ;   in Loop: Header=BB4_524 Depth=3
	s_trap 2
	ds_load_b64 v[102:103], v0
	s_and_not1_b32 s44, s44, exec_lo
	s_mov_b32 s43, 0
	s_wait_storecnt 0x0
	s_wait_loadcnt_dscnt 0x0
	flat_load_b32 v3, v[102:103] scope:SCOPE_SYS
	s_wait_loadcnt_dscnt 0x0
	global_inv scope:SCOPE_SYS
	v_cmp_eq_u32_e32 vcc_lo, 0, v3
	s_and_b32 s45, vcc_lo, exec_lo
	s_delay_alu instid0(SALU_CYCLE_1)
	s_or_b32 s44, s44, s45
	s_mov_b32 s46, -1
	s_or_b32 s42, s42, exec_lo
	s_and_saveexec_b32 s45, s44
	s_cbranch_execz .LBB4_523
.LBB4_527:                              ;   in Loop: Header=BB4_524 Depth=3
	s_sleep 1
	s_trap 2
	ds_load_b64 v[102:103], v0
	s_wait_dscnt 0x0
	s_and_not1_b32 s42, s42, exec_lo
	v_cmp_ge_u64_e32 vcc_lo, v[102:103], v[14:15]
	s_or_not1_b32 s46, vcc_lo, exec_lo
	s_branch .LBB4_523
.LBB4_528:                              ;   in Loop: Header=BB4_471 Depth=2
	s_or_b32 exec_lo, exec_lo, s40
	s_and_saveexec_b32 s40, s41
	s_delay_alu instid0(SALU_CYCLE_1)
	s_xor_b32 s40, exec_lo, s40
	s_cbranch_execz .LBB4_530
; %bb.529:                              ;   in Loop: Header=BB4_471 Depth=2
	ds_store_b32 v0, v58
	s_trap 2
.LBB4_530:                              ;   in Loop: Header=BB4_471 Depth=2
	s_or_b32 exec_lo, exec_lo, s29
	;;#ASMSTART
	s_wakeup
	;;#ASMEND
.LBB4_531:                              ;   in Loop: Header=BB4_471 Depth=2
	s_or_b32 exec_lo, exec_lo, s28
.LBB4_532:                              ;   in Loop: Header=BB4_471 Depth=2
	s_and_not1_saveexec_b32 s17, s17
	s_cbranch_execz .LBB4_534
; %bb.533:                              ;   in Loop: Header=BB4_471 Depth=2
	;;#ASMSTART
	s_waitcnt lgkmcnt(0) vmcnt(0)
	;;#ASMEND
	s_barrier_signal -1
	s_barrier_wait -1
.LBB4_534:                              ;   in Loop: Header=BB4_471 Depth=2
	s_or_b32 exec_lo, exec_lo, s17
	v_and_b32_e32 v3, 16, v30
.LBB4_535:                              ;   in Loop: Header=BB4_471 Depth=2
	s_or_b32 exec_lo, exec_lo, s13
	s_delay_alu instid0(SALU_CYCLE_1) | instskip(NEXT) | instid1(VALU_DEP_1)
	s_mov_b32 s13, exec_lo
	v_cmpx_ne_u32_e32 0, v3
	s_cbranch_execz .LBB4_470
; %bb.536:                              ;   in Loop: Header=BB4_471 Depth=2
	s_and_saveexec_b32 s17, s4
	s_cbranch_execz .LBB4_469
; %bb.537:                              ;   in Loop: Header=BB4_471 Depth=2
	global_wb scope:SCOPE_SYS
	s_wait_storecnt 0x0
	s_wait_loadcnt_dscnt 0x0
	flat_store_b32 v[34:35], v58 scope:SCOPE_SYS
	s_branch .LBB4_469
.LBB4_538:                              ;   in Loop: Header=BB4_73 Depth=1
	s_or_b32 exec_lo, exec_lo, s15
.LBB4_539:                              ;   in Loop: Header=BB4_73 Depth=1
	s_delay_alu instid0(SALU_CYCLE_1)
	s_or_b32 exec_lo, exec_lo, s14
	s_and_not1_saveexec_b32 s14, s28
	s_cbranch_execnz .LBB4_253
.LBB4_540:                              ;   in Loop: Header=BB4_73 Depth=1
	s_or_b32 exec_lo, exec_lo, s14
	s_delay_alu instid0(SALU_CYCLE_1)
	s_and_not1_b32 vcc_lo, exec_lo, s24
	s_cbranch_vccz .LBB4_543
	s_branch .LBB4_805
.LBB4_541:                              ;   in Loop: Header=BB4_73 Depth=1
	s_or_b32 exec_lo, exec_lo, s16
.LBB4_542:                              ;   in Loop: Header=BB4_73 Depth=1
	s_delay_alu instid0(SALU_CYCLE_1) | instskip(NEXT) | instid1(SALU_CYCLE_1)
	s_or_b32 exec_lo, exec_lo, s15
	s_or_b32 exec_lo, exec_lo, s14
	s_delay_alu instid0(SALU_CYCLE_1)
	s_and_not1_b32 vcc_lo, exec_lo, s24
	s_cbranch_vccnz .LBB4_805
.LBB4_543:                              ;   in Loop: Header=BB4_73 Depth=1
	s_mov_b32 s28, 1
.LBB4_544:                              ;   Parent Loop BB4_73 Depth=1
                                        ; =>  This Loop Header: Depth=2
                                        ;       Child Loop BB4_547 Depth 3
                                        ;         Child Loop BB4_555 Depth 4
                                        ;         Child Loop BB4_583 Depth 4
	;; [unrolled: 1-line block ×4, first 2 shown]
                                        ;           Child Loop BB4_626 Depth 5
                                        ;         Child Loop BB4_632 Depth 4
                                        ;           Child Loop BB4_633 Depth 5
                                        ;         Child Loop BB4_642 Depth 4
                                        ;         Child Loop BB4_647 Depth 4
                                        ;           Child Loop BB4_648 Depth 5
                                        ;         Child Loop BB4_660 Depth 4
                                        ;         Child Loop BB4_665 Depth 4
	;; [unrolled: 1-line block ×6, first 2 shown]
                                        ;       Child Loop BB4_730 Depth 3
                                        ;         Child Loop BB4_736 Depth 4
                                        ;         Child Loop BB4_764 Depth 4
	;; [unrolled: 1-line block ×3, first 2 shown]
	v_dual_mov_b32 v2, 0 :: v_dual_mov_b32 v112, v73
	v_mov_b32_e32 v102, 0
	s_and_saveexec_b32 s29, s12
	s_cbranch_execz .LBB4_727
; %bb.545:                              ;   in Loop: Header=BB4_544 Depth=2
	s_sub_co_i32 s13, s18, s28
	v_readfirstlane_b32 s14, v18
	v_dual_mov_b32 v2, s13 :: v_dual_mov_b32 v102, 0
	v_readfirstlane_b32 s15, v19
	s_mov_b32 s42, 1
	s_mov_b32 s41, -1
	s_mov_b32 s40, 0
	v_mov_b32_e32 v112, v73
	flat_load_b32 v2, v2, s[14:15] scale_offset
	s_wait_loadcnt_dscnt 0x0
	v_mad_nc_u64_u32 v[114:115], v20, v2, v[100:101]
	s_delay_alu instid0(VALU_DEP_1) | instskip(SKIP_2) | instid1(VALU_DEP_1)
	v_mad_u32 v3, v21, v2, v115
	s_wait_xcnt 0x0
	v_ashrrev_i32_e32 v2, 31, v2
	v_mad_u32 v115, v20, v2, v3
	s_branch .LBB4_547
.LBB4_546:                              ;   in Loop: Header=BB4_547 Depth=3
	s_wait_xcnt 0x0
	s_or_b32 exec_lo, exec_lo, s13
	v_dual_add_nc_u32 v102, v112, v102 :: v_dual_mov_b32 v2, s42
	s_xor_b32 s13, s41, -1
	s_mov_b32 s41, 0
	s_mov_b32 s42, 2
	s_delay_alu instid0(VALU_DEP_1) | instskip(SKIP_1) | instid1(SALU_CYCLE_1)
	v_cmp_ge_i32_e32 vcc_lo, v102, v72
	s_or_b32 s13, s13, vcc_lo
	s_and_b32 s13, exec_lo, s13
	s_delay_alu instid0(SALU_CYCLE_1) | instskip(NEXT) | instid1(SALU_CYCLE_1)
	s_or_b32 s40, s13, s40
	s_and_not1_b32 exec_lo, exec_lo, s40
	s_cbranch_execz .LBB4_726
.LBB4_547:                              ;   Parent Loop BB4_73 Depth=1
                                        ;     Parent Loop BB4_544 Depth=2
                                        ; =>    This Loop Header: Depth=3
                                        ;         Child Loop BB4_555 Depth 4
                                        ;         Child Loop BB4_583 Depth 4
                                        ;         Child Loop BB4_602 Depth 4
                                        ;         Child Loop BB4_625 Depth 4
                                        ;           Child Loop BB4_626 Depth 5
                                        ;         Child Loop BB4_632 Depth 4
                                        ;           Child Loop BB4_633 Depth 5
                                        ;         Child Loop BB4_642 Depth 4
                                        ;         Child Loop BB4_647 Depth 4
                                        ;           Child Loop BB4_648 Depth 5
                                        ;         Child Loop BB4_660 Depth 4
                                        ;         Child Loop BB4_665 Depth 4
	;; [unrolled: 1-line block ×6, first 2 shown]
	s_and_saveexec_b32 s13, s0
	s_cbranch_execz .LBB4_549
; %bb.548:                              ;   in Loop: Header=BB4_547 Depth=3
	s_trap 2
	ds_load_b128 v[2:5], v0
	s_wait_dscnt 0x0
	v_add_nc_u64_e32 v[116:117], v[4:5], v[114:115]
	v_cmp_ne_u64_e32 vcc_lo, 0, v[4:5]
	v_ashrrev_i32_e32 v103, 31, v102
	v_add_nc_u64_e32 v[2:3], v[2:3], v[114:115]
	s_delay_alu instid0(VALU_DEP_2) | instskip(NEXT) | instid1(VALU_DEP_1)
	v_add_nc_u64_e32 v[116:117], v[116:117], v[102:103]
	v_cndmask_b32_e32 v5, 0, v117, vcc_lo
	s_delay_alu instid0(VALU_DEP_3) | instskip(NEXT) | instid1(VALU_DEP_3)
	v_add_nc_u64_e32 v[2:3], v[2:3], v[102:103]
	v_cndmask_b32_e32 v4, 0, v116, vcc_lo
	ds_store_b64 v0, v[2:3]
	ds_store_b64 v0, v[4:5]
.LBB4_549:                              ;   in Loop: Header=BB4_547 Depth=3
	s_or_b32 exec_lo, exec_lo, s13
	v_sub_nc_u32_e32 v2, v72, v102
	v_and_b32_e32 v3, 12, v30
	s_mov_b32 s14, exec_lo
	s_delay_alu instid0(VALU_DEP_2) | instskip(NEXT) | instid1(VALU_DEP_2)
	v_min_i32_e32 v112, v112, v2
	v_cmpx_ne_u32_e32 0, v3
	s_cbranch_execz .LBB4_575
; %bb.550:                              ;   in Loop: Header=BB4_547 Depth=3
	v_and_b32_e32 v48, 8, v30
	v_add_nc_u64_e32 v[2:3], 2, v[98:99]
	s_mov_b32 s15, exec_lo
	s_wait_loadcnt 0x0
	s_delay_alu instid0(VALU_DEP_2) | instskip(NEXT) | instid1(VALU_DEP_1)
	v_add_nc_u64_e32 v[4:5], v[36:37], v[48:49]
	v_cmpx_lt_u64_e64 v[4:5], v[2:3]
	s_cbranch_execz .LBB4_562
; %bb.551:                              ;   in Loop: Header=BB4_547 Depth=3
	v_and_b32_e32 v4, 64, v30
	s_mov_b32 s16, 0
	s_mov_b32 s45, 0
                                        ; implicit-def: $sgpr17
                                        ; implicit-def: $sgpr43
                                        ; implicit-def: $sgpr44
	s_delay_alu instid0(VALU_DEP_1)
	v_cmp_eq_u32_e32 vcc_lo, 0, v4
	s_branch .LBB4_555
.LBB4_552:                              ;   in Loop: Header=BB4_555 Depth=4
	s_wait_loadcnt_dscnt 0x0
	v_add_nc_u64_e32 v[116:117], v[36:37], v[48:49]
	s_or_b32 s56, s56, exec_lo
	s_delay_alu instid0(VALU_DEP_1)
	v_cmp_ge_u64_e64 s13, v[116:117], v[2:3]
	s_or_not1_b32 s47, s13, exec_lo
.LBB4_553:                              ;   in Loop: Header=BB4_555 Depth=4
	s_or_b32 exec_lo, exec_lo, s58
	s_delay_alu instid0(SALU_CYCLE_1)
	s_and_not1_b32 s13, s44, exec_lo
	s_and_b32 s44, s56, exec_lo
	s_and_not1_b32 s43, s43, exec_lo
	s_and_b32 s47, s47, exec_lo
	s_or_b32 s44, s13, s44
	s_or_b32 s43, s43, s47
.LBB4_554:                              ;   in Loop: Header=BB4_555 Depth=4
	s_or_b32 exec_lo, exec_lo, s46
	s_delay_alu instid0(SALU_CYCLE_1) | instskip(NEXT) | instid1(SALU_CYCLE_1)
	s_and_b32 s13, exec_lo, s43
	s_or_b32 s16, s13, s16
	s_and_not1_b32 s13, s17, exec_lo
	s_and_b32 s17, s44, exec_lo
	s_delay_alu instid0(SALU_CYCLE_1)
	s_or_b32 s17, s13, s17
	s_and_not1_b32 exec_lo, exec_lo, s16
	s_cbranch_execz .LBB4_559
.LBB4_555:                              ;   Parent Loop BB4_73 Depth=1
                                        ;     Parent Loop BB4_544 Depth=2
                                        ;       Parent Loop BB4_547 Depth=3
                                        ; =>      This Inner Loop Header: Depth=4
	s_sleep 1
	s_wait_loadcnt_dscnt 0x0
	flat_load_b64 v[36:37], v[26:27] scope:SCOPE_SYS
	s_or_b32 s44, s44, exec_lo
	s_or_b32 s43, s43, exec_lo
                                        ; implicit-def: $vgpr4
	s_wait_xcnt 0x0
	s_and_saveexec_b32 s46, vcc_lo
	s_cbranch_execz .LBB4_554
; %bb.556:                              ;   in Loop: Header=BB4_555 Depth=4
	s_cmp_lt_i32 s45, 0x270f
	s_mov_b32 s47, -1
	s_cselect_b32 s57, -1, 0
	s_cmp_gt_i32 s45, 0x270e
	s_cbranch_scc0 .LBB4_558
; %bb.557:                              ;   in Loop: Header=BB4_555 Depth=4
	s_trap 2
	ds_load_b64 v[4:5], v0
	s_and_not1_b32 s45, s57, exec_lo
	s_mov_b32 s56, 0
	s_wait_storecnt 0x0
	s_wait_loadcnt_dscnt 0x0
	flat_load_b32 v4, v[4:5] scope:SCOPE_SYS
	s_wait_loadcnt_dscnt 0x0
	global_inv scope:SCOPE_SYS
	v_cmp_eq_u32_e64 s13, 0, v4
	s_and_b32 s13, s13, exec_lo
	s_delay_alu instid0(SALU_CYCLE_1)
	s_or_b32 s57, s45, s13
	s_mov_b32 s45, 0
	s_and_saveexec_b32 s58, s57
	s_cbranch_execz .LBB4_553
	s_branch .LBB4_552
.LBB4_558:                              ;   in Loop: Header=BB4_555 Depth=4
	s_add_co_i32 s45, s45, 1
	s_mov_b32 s56, -1
                                        ; implicit-def: $vgpr4
	s_and_saveexec_b32 s58, s57
	s_cbranch_execz .LBB4_553
	s_branch .LBB4_552
.LBB4_559:                              ;   in Loop: Header=BB4_547 Depth=3
	s_or_b32 exec_lo, exec_lo, s16
	s_xor_b32 s13, s17, -1
	s_delay_alu instid0(SALU_CYCLE_1) | instskip(NEXT) | instid1(SALU_CYCLE_1)
	s_and_saveexec_b32 s16, s13
	s_xor_b32 s13, exec_lo, s16
	s_cbranch_execz .LBB4_561
; %bb.560:                              ;   in Loop: Header=BB4_547 Depth=3
	v_or_b32_e32 v30, 64, v30
	s_wait_storecnt 0x0
	s_wait_loadcnt_dscnt 0x0
	ds_store_b32 v0, v4
	s_trap 2
.LBB4_561:                              ;   in Loop: Header=BB4_547 Depth=3
	s_or_b32 exec_lo, exec_lo, s13
.LBB4_562:                              ;   in Loop: Header=BB4_547 Depth=3
	s_delay_alu instid0(SALU_CYCLE_1) | instskip(SKIP_2) | instid1(VALU_DEP_1)
	s_or_b32 exec_lo, exec_lo, s15
	v_and_b32_e32 v4, 0x108, v30
	;;#ASMSTART
	s_wakeup
	;;#ASMEND
	v_cmp_ne_u32_e32 vcc_lo, 0x108, v4
                                        ; implicit-def: $vgpr4_vgpr5
	s_and_saveexec_b32 s13, vcc_lo
	s_delay_alu instid0(SALU_CYCLE_1)
	s_xor_b32 s13, exec_lo, s13
; %bb.563:                              ;   in Loop: Header=BB4_547 Depth=3
	v_dual_mov_b32 v5, v49 :: v_dual_bitop2_b32 v4, 7, v98 bitop3:0x40
                                        ; implicit-def: $vgpr98_vgpr99
; %bb.564:                              ;   in Loop: Header=BB4_547 Depth=3
	s_and_not1_saveexec_b32 s13, s13
	s_cbranch_execz .LBB4_566
; %bb.565:                              ;   in Loop: Header=BB4_547 Depth=3
	v_dual_ashrrev_i32 v113, 31, v112 :: v_dual_bitop2_b32 v4, 7, v98 bitop3:0x40
	v_mov_b32_e32 v5, v49
	s_delay_alu instid0(VALU_DEP_2)
	v_mad_nc_u64_u32 v[98:99], v4, 24, v[12:13]
	flat_store_b64 v[98:99], v[112:113] offset:8
.LBB4_566:                              ;   in Loop: Header=BB4_547 Depth=3
	s_wait_xcnt 0x0
	s_or_b32 exec_lo, exec_lo, s13
	v_and_b32_e32 v98, 0x100, v30
	s_mov_b32 s13, -1
	s_delay_alu instid0(VALU_DEP_1)
	v_cmp_ne_u32_e32 vcc_lo, 0, v98
                                        ; implicit-def: $vgpr98_vgpr99
	s_and_saveexec_b32 s15, vcc_lo
	s_cbranch_execz .LBB4_570
; %bb.567:                              ;   in Loop: Header=BB4_547 Depth=3
	v_mad_nc_u64_u32 v[116:117], v4, 24, v[12:13]
	s_delay_alu instid0(VALU_DEP_1)
	v_mad_u32 v117, v5, 24, v117
	flat_load_b32 v98, v[116:117]
	s_wait_loadcnt_dscnt 0x0
	v_cmp_eq_u32_e64 s13, 1, v98
	v_cmp_ne_u32_e32 vcc_lo, 1, v98
                                        ; implicit-def: $vgpr98_vgpr99
	s_wait_xcnt 0x0
	s_and_saveexec_b32 s16, s13
	s_cbranch_execz .LBB4_569
; %bb.568:                              ;   in Loop: Header=BB4_547 Depth=3
	flat_load_b32 v98, v[116:117] offset:4 scope:SCOPE_SYS
	s_wait_loadcnt_dscnt 0x0
	v_ashrrev_i32_e32 v99, 31, v98
.LBB4_569:                              ;   in Loop: Header=BB4_547 Depth=3
	s_wait_xcnt 0x0
	s_or_b32 exec_lo, exec_lo, s16
	s_delay_alu instid0(SALU_CYCLE_1)
	s_or_not1_b32 s13, vcc_lo, exec_lo
.LBB4_570:                              ;   in Loop: Header=BB4_547 Depth=3
	s_or_b32 exec_lo, exec_lo, s15
	s_and_saveexec_b32 s15, s13
; %bb.571:                              ;   in Loop: Header=BB4_547 Depth=3
	v_mul_u64_e32 v[98:99], v[4:5], v[28:29]
; %bb.572:                              ;   in Loop: Header=BB4_547 Depth=3
	s_or_b32 exec_lo, exec_lo, s15
	v_cmp_eq_u32_e32 vcc_lo, 0, v48
	s_delay_alu instid0(VALU_DEP_2) | instskip(SKIP_3) | instid1(VALU_DEP_1)
	v_add_nc_u64_e32 v[4:5], v[32:33], v[98:99]
	v_and_b32_e32 v103, 0x2000, v30
	s_mov_b32 s13, exec_lo
	v_cndmask_b32_e32 v48, 0xd0, v59, vcc_lo
	v_add_nc_u32_e32 v48, v0, v48
	ds_store_b64 v48, v[4:5] offset:584
	v_cmpx_ne_u32_e32 0, v103
	s_cbranch_execz .LBB4_574
; %bb.573:                              ;   in Loop: Header=BB4_547 Depth=3
	ds_load_b64 v[4:5], v0 offset:872
	s_wait_dscnt 0x0
	v_add_nc_u64_e32 v[4:5], 1, v[4:5]
	ds_store_b64 v0, v[4:5] offset:872
.LBB4_574:                              ;   in Loop: Header=BB4_547 Depth=3
	s_or_b32 exec_lo, exec_lo, s13
	v_mov_b64_e32 v[98:99], v[2:3]
.LBB4_575:                              ;   in Loop: Header=BB4_547 Depth=3
	s_or_b32 exec_lo, exec_lo, s14
	s_and_saveexec_b32 s13, s1
	s_cbranch_execz .LBB4_594
; %bb.576:                              ;   in Loop: Header=BB4_547 Depth=3
	s_and_saveexec_b32 s14, s2
	s_delay_alu instid0(SALU_CYCLE_1)
	s_xor_b32 s14, exec_lo, s14
	s_cbranch_execz .LBB4_591
; %bb.577:                              ;   in Loop: Header=BB4_547 Depth=3
	s_and_saveexec_b32 s15, s5
	s_cbranch_execz .LBB4_590
; %bb.578:                              ;   in Loop: Header=BB4_547 Depth=3
	s_mov_b32 s17, exec_lo
	s_mov_b32 s16, exec_lo
	v_mbcnt_lo_u32_b32 v2, s17, 0
	global_wb scope:SCOPE_DEV
	s_wait_storecnt 0x0
	s_wait_loadcnt_dscnt 0x0
	global_inv scope:SCOPE_DEV
	v_cmpx_eq_u32_e32 0, v2
	s_cbranch_execz .LBB4_580
; %bb.579:                              ;   in Loop: Header=BB4_547 Depth=3
	s_bcnt1_i32_b32 s17, s17
	s_delay_alu instid0(SALU_CYCLE_1)
	v_mov_b32_e32 v48, s17
	s_wait_loadcnt 0x0
	ds_add_u64 v0, v[48:49]
	s_trap 2
.LBB4_580:                              ;   in Loop: Header=BB4_547 Depth=3
	s_or_b32 exec_lo, exec_lo, s16
	s_trap 2
	ds_load_b64 v[2:3], v0
	s_wait_dscnt 0x0
	v_add_nc_u64_e32 v[14:15], v[14:15], v[50:51]
	s_mov_b32 s16, exec_lo
	s_delay_alu instid0(VALU_DEP_1)
	v_cmpx_lt_u64_e64 v[2:3], v[14:15]
	s_cbranch_execz .LBB4_589
; %bb.581:                              ;   in Loop: Header=BB4_547 Depth=3
	s_mov_b32 s17, 0
	s_mov_b32 s45, 0
                                        ; implicit-def: $sgpr43
                                        ; implicit-def: $sgpr44
	s_branch .LBB4_583
.LBB4_582:                              ;   in Loop: Header=BB4_583 Depth=4
	s_or_b32 exec_lo, exec_lo, s47
	s_delay_alu instid0(SALU_CYCLE_1) | instskip(NEXT) | instid1(SALU_CYCLE_1)
	s_and_b32 s46, exec_lo, s56
	s_or_b32 s17, s46, s17
	s_and_not1_b32 s43, s43, exec_lo
	s_and_b32 s46, s44, exec_lo
	s_delay_alu instid0(SALU_CYCLE_1)
	s_or_b32 s43, s43, s46
	s_and_not1_b32 exec_lo, exec_lo, s17
	s_cbranch_execz .LBB4_587
.LBB4_583:                              ;   Parent Loop BB4_73 Depth=1
                                        ;     Parent Loop BB4_544 Depth=2
                                        ;       Parent Loop BB4_547 Depth=3
                                        ; =>      This Inner Loop Header: Depth=4
	s_add_co_i32 s45, s45, 1
	s_delay_alu instid0(SALU_CYCLE_1) | instskip(SKIP_1) | instid1(SALU_CYCLE_1)
	s_cmp_lg_u32 s45, 0x2710
	s_cselect_b32 s46, -1, 0
	s_and_b32 vcc_lo, exec_lo, s46
	s_cbranch_vccz .LBB4_585
; %bb.584:                              ;   in Loop: Header=BB4_583 Depth=4
	s_mov_b32 s56, -1
	s_or_b32 s44, s44, exec_lo
	s_and_saveexec_b32 s47, s46
	s_cbranch_execz .LBB4_582
	s_branch .LBB4_586
.LBB4_585:                              ;   in Loop: Header=BB4_583 Depth=4
	s_trap 2
	ds_load_b64 v[2:3], v0
	s_and_not1_b32 s46, s46, exec_lo
	s_mov_b32 s45, 0
	s_wait_loadcnt_dscnt 0x0
	flat_load_b32 v2, v[2:3] scope:SCOPE_SYS
	s_wait_loadcnt_dscnt 0x0
	global_inv scope:SCOPE_SYS
	v_cmp_eq_u32_e32 vcc_lo, 0, v2
	s_and_b32 s47, vcc_lo, exec_lo
	s_delay_alu instid0(SALU_CYCLE_1)
	s_or_b32 s46, s46, s47
	s_mov_b32 s56, -1
	s_or_b32 s44, s44, exec_lo
	s_and_saveexec_b32 s47, s46
	s_cbranch_execz .LBB4_582
.LBB4_586:                              ;   in Loop: Header=BB4_583 Depth=4
	s_sleep 1
	s_trap 2
	ds_load_b64 v[2:3], v0
	s_wait_dscnt 0x0
	s_and_not1_b32 s44, s44, exec_lo
	v_cmp_ge_u64_e32 vcc_lo, v[2:3], v[14:15]
	s_or_not1_b32 s56, vcc_lo, exec_lo
	s_branch .LBB4_582
.LBB4_587:                              ;   in Loop: Header=BB4_547 Depth=3
	s_or_b32 exec_lo, exec_lo, s17
	s_and_saveexec_b32 s17, s43
	s_delay_alu instid0(SALU_CYCLE_1)
	s_xor_b32 s17, exec_lo, s17
	s_cbranch_execz .LBB4_589
; %bb.588:                              ;   in Loop: Header=BB4_547 Depth=3
	ds_store_b32 v0, v58
	s_trap 2
.LBB4_589:                              ;   in Loop: Header=BB4_547 Depth=3
	s_or_b32 exec_lo, exec_lo, s16
	;;#ASMSTART
	s_wakeup
	;;#ASMEND
.LBB4_590:                              ;   in Loop: Header=BB4_547 Depth=3
	s_or_b32 exec_lo, exec_lo, s15
.LBB4_591:                              ;   in Loop: Header=BB4_547 Depth=3
	s_and_not1_saveexec_b32 s14, s14
	s_cbranch_execz .LBB4_593
; %bb.592:                              ;   in Loop: Header=BB4_547 Depth=3
	global_wb scope:SCOPE_DEV
	s_wait_storecnt 0x0
	s_wait_loadcnt_dscnt 0x0
	global_inv scope:SCOPE_DEV
	s_barrier_signal -1
	s_barrier_wait -1
.LBB4_593:                              ;   in Loop: Header=BB4_547 Depth=3
	s_or_b32 exec_lo, exec_lo, s14
.LBB4_594:                              ;   in Loop: Header=BB4_547 Depth=3
	s_delay_alu instid0(SALU_CYCLE_1) | instskip(SKIP_3) | instid1(VALU_DEP_1)
	s_or_b32 exec_lo, exec_lo, s13
	s_trap 2
	ds_load_b32 v2, v0
	v_and_b32_e32 v3, 0x4000, v30
	v_cmp_ne_u32_e32 vcc_lo, 0, v3
	s_and_b32 s14, s27, vcc_lo
	s_delay_alu instid0(SALU_CYCLE_1)
	s_and_saveexec_b32 s13, s14
	s_cbranch_execz .LBB4_613
; %bb.595:                              ;   in Loop: Header=BB4_547 Depth=3
	s_and_saveexec_b32 s14, s2
	s_delay_alu instid0(SALU_CYCLE_1)
	s_xor_b32 s14, exec_lo, s14
	s_cbranch_execz .LBB4_610
; %bb.596:                              ;   in Loop: Header=BB4_547 Depth=3
	s_and_saveexec_b32 s15, s5
	s_cbranch_execz .LBB4_609
; %bb.597:                              ;   in Loop: Header=BB4_547 Depth=3
	s_mov_b32 s17, exec_lo
	s_mov_b32 s16, exec_lo
	v_mbcnt_lo_u32_b32 v3, s17, 0
	global_wb scope:SCOPE_DEV
	s_wait_storecnt 0x0
	s_wait_loadcnt_dscnt 0x0
	global_inv scope:SCOPE_DEV
	v_cmpx_eq_u32_e32 0, v3
	s_cbranch_execz .LBB4_599
; %bb.598:                              ;   in Loop: Header=BB4_547 Depth=3
	s_bcnt1_i32_b32 s17, s17
	s_delay_alu instid0(SALU_CYCLE_1)
	v_mov_b32_e32 v48, s17
	s_wait_loadcnt 0x0
	ds_add_u64 v0, v[48:49]
	s_trap 2
.LBB4_599:                              ;   in Loop: Header=BB4_547 Depth=3
	s_or_b32 exec_lo, exec_lo, s16
	s_trap 2
	ds_load_b64 v[4:5], v0
	s_wait_dscnt 0x0
	v_add_nc_u64_e32 v[14:15], v[14:15], v[50:51]
	s_mov_b32 s16, exec_lo
	s_delay_alu instid0(VALU_DEP_1)
	v_cmpx_lt_u64_e64 v[4:5], v[14:15]
	s_cbranch_execz .LBB4_608
; %bb.600:                              ;   in Loop: Header=BB4_547 Depth=3
	s_mov_b32 s17, 0
	s_mov_b32 s45, 0
                                        ; implicit-def: $sgpr43
                                        ; implicit-def: $sgpr44
	s_branch .LBB4_602
.LBB4_601:                              ;   in Loop: Header=BB4_602 Depth=4
	s_or_b32 exec_lo, exec_lo, s47
	s_delay_alu instid0(SALU_CYCLE_1) | instskip(NEXT) | instid1(SALU_CYCLE_1)
	s_and_b32 s46, exec_lo, s56
	s_or_b32 s17, s46, s17
	s_and_not1_b32 s43, s43, exec_lo
	s_and_b32 s46, s44, exec_lo
	s_delay_alu instid0(SALU_CYCLE_1)
	s_or_b32 s43, s43, s46
	s_and_not1_b32 exec_lo, exec_lo, s17
	s_cbranch_execz .LBB4_606
.LBB4_602:                              ;   Parent Loop BB4_73 Depth=1
                                        ;     Parent Loop BB4_544 Depth=2
                                        ;       Parent Loop BB4_547 Depth=3
                                        ; =>      This Inner Loop Header: Depth=4
	s_add_co_i32 s45, s45, 1
	s_delay_alu instid0(SALU_CYCLE_1) | instskip(SKIP_1) | instid1(SALU_CYCLE_1)
	s_cmp_lg_u32 s45, 0x2710
	s_cselect_b32 s46, -1, 0
	s_and_b32 vcc_lo, exec_lo, s46
	s_cbranch_vccz .LBB4_604
; %bb.603:                              ;   in Loop: Header=BB4_602 Depth=4
	s_mov_b32 s56, -1
	s_or_b32 s44, s44, exec_lo
	s_and_saveexec_b32 s47, s46
	s_cbranch_execz .LBB4_601
	s_branch .LBB4_605
.LBB4_604:                              ;   in Loop: Header=BB4_602 Depth=4
	s_trap 2
	ds_load_b64 v[4:5], v0
	s_and_not1_b32 s46, s46, exec_lo
	s_mov_b32 s45, 0
	s_wait_loadcnt_dscnt 0x0
	flat_load_b32 v3, v[4:5] scope:SCOPE_SYS
	s_wait_loadcnt_dscnt 0x0
	global_inv scope:SCOPE_SYS
	v_cmp_eq_u32_e32 vcc_lo, 0, v3
	s_and_b32 s47, vcc_lo, exec_lo
	s_delay_alu instid0(SALU_CYCLE_1)
	s_or_b32 s46, s46, s47
	s_mov_b32 s56, -1
	s_or_b32 s44, s44, exec_lo
	s_and_saveexec_b32 s47, s46
	s_cbranch_execz .LBB4_601
.LBB4_605:                              ;   in Loop: Header=BB4_602 Depth=4
	s_sleep 1
	s_trap 2
	ds_load_b64 v[4:5], v0
	s_wait_dscnt 0x0
	s_and_not1_b32 s44, s44, exec_lo
	v_cmp_ge_u64_e32 vcc_lo, v[4:5], v[14:15]
	s_or_not1_b32 s56, vcc_lo, exec_lo
	s_branch .LBB4_601
.LBB4_606:                              ;   in Loop: Header=BB4_547 Depth=3
	s_or_b32 exec_lo, exec_lo, s17
	s_and_saveexec_b32 s17, s43
	s_delay_alu instid0(SALU_CYCLE_1)
	s_xor_b32 s17, exec_lo, s17
	s_cbranch_execz .LBB4_608
; %bb.607:                              ;   in Loop: Header=BB4_547 Depth=3
	ds_store_b32 v0, v58
	s_trap 2
.LBB4_608:                              ;   in Loop: Header=BB4_547 Depth=3
	s_or_b32 exec_lo, exec_lo, s16
	;;#ASMSTART
	s_wakeup
	;;#ASMEND
.LBB4_609:                              ;   in Loop: Header=BB4_547 Depth=3
	s_or_b32 exec_lo, exec_lo, s15
.LBB4_610:                              ;   in Loop: Header=BB4_547 Depth=3
	s_and_not1_saveexec_b32 s14, s14
	s_cbranch_execz .LBB4_612
; %bb.611:                              ;   in Loop: Header=BB4_547 Depth=3
	global_wb scope:SCOPE_DEV
	s_wait_storecnt 0x0
	s_wait_loadcnt_dscnt 0x0
	global_inv scope:SCOPE_DEV
	s_barrier_signal -1
	s_barrier_wait -1
.LBB4_612:                              ;   in Loop: Header=BB4_547 Depth=3
	s_or_b32 exec_lo, exec_lo, s14
.LBB4_613:                              ;   in Loop: Header=BB4_547 Depth=3
	s_delay_alu instid0(SALU_CYCLE_1)
	s_or_b32 exec_lo, exec_lo, s13
	s_trap 2
	ds_load_b64 v[116:117], v0
	s_wait_dscnt 0x0
	v_cmp_eq_u64_e32 vcc_lo, 0, v[116:117]
	s_cbranch_vccnz .LBB4_622
; %bb.614:                              ;   in Loop: Header=BB4_547 Depth=3
	s_trap 2
	ds_load_b64 v[118:119], v0
	s_wait_dscnt 0x0
	v_cmp_eq_u64_e32 vcc_lo, 0, v[118:119]
	s_cbranch_vccnz .LBB4_622
; %bb.615:                              ;   in Loop: Header=BB4_547 Depth=3
	s_trap 2
	ds_load_b64 v[40:41], v0
	v_cmp_eq_u32_e64 s13, 0, v2
	s_delay_alu instid0(VALU_DEP_1)
	v_cndmask_b32_e64 v48, 0, v112, s13
	s_mov_b32 s13, -1
	s_wait_dscnt 0x0
	v_cmp_ne_u64_e32 vcc_lo, 0, v[40:41]
	s_cbranch_vccz .LBB4_651
; %bb.616:                              ;   in Loop: Header=BB4_547 Depth=3
	s_and_saveexec_b32 s14, s11
	s_cbranch_execz .LBB4_618
; %bb.617:                              ;   in Loop: Header=BB4_547 Depth=3
	ds_load_b32 v2, v0 offset:720
	s_wait_dscnt 0x0
	v_and_b32_e32 v2, 15, v2
	s_delay_alu instid0(VALU_DEP_1)
	v_cmp_eq_u32_e32 vcc_lo, 0, v2
	s_or_not1_b32 s13, vcc_lo, exec_lo
.LBB4_618:                              ;   in Loop: Header=BB4_547 Depth=3
	s_or_b32 exec_lo, exec_lo, s14
	s_and_saveexec_b32 s14, s10
	s_cbranch_execz .LBB4_620
; %bb.619:                              ;   in Loop: Header=BB4_547 Depth=3
	ds_load_b32 v2, v0 offset:784
	s_wait_dscnt 0x0
	v_and_b32_e32 v2, 15, v2
	s_delay_alu instid0(VALU_DEP_1) | instskip(SKIP_3) | instid1(SALU_CYCLE_1)
	v_cmp_eq_u32_e32 vcc_lo, 0, v2
	s_and_b32 s15, s13, vcc_lo
	s_and_not1_b32 s13, s13, exec_lo
	s_and_b32 s15, s15, exec_lo
	s_or_b32 s13, s13, s15
.LBB4_620:                              ;   in Loop: Header=BB4_547 Depth=3
	s_or_b32 exec_lo, exec_lo, s14
	s_xor_b32 s13, s13, -1
	v_dual_mov_b32 v103, 0 :: v_dual_mov_b32 v113, v48
	v_cndmask_b32_e64 v2, 0, 1, s13
	v_mov_b32_e32 v42, v0
	s_mov_b32 s14, -1
	s_delay_alu instid0(VALU_DEP_2)
	v_cmp_ne_u32_e32 vcc_lo, 0, v2
	v_mov_b32_e32 v2, v61
	s_cbranch_vccz .LBB4_623
; %bb.621:                              ;   in Loop: Header=BB4_547 Depth=3
	s_and_saveexec_b32 s15, s14
	s_cbranch_execnz .LBB4_640
	s_branch .LBB4_650
.LBB4_622:                              ;   in Loop: Header=BB4_547 Depth=3
	s_mov_b32 s13, 0
	s_and_saveexec_b32 s14, s1
	s_cbranch_execnz .LBB4_681
	s_branch .LBB4_699
.LBB4_623:                              ;   in Loop: Header=BB4_547 Depth=3
	v_ashrrev_i32_e32 v2, 31, v48
	s_mov_b32 s43, exec_lo
	s_delay_alu instid0(VALU_DEP_1) | instskip(NEXT) | instid1(VALU_DEP_1)
	v_dual_sub_nc_u32 v103, v48, v52 :: v_dual_lshrrev_b32 v2, 23, v2
	v_add_nc_u32_e32 v2, v48, v2
	s_delay_alu instid0(VALU_DEP_1) | instskip(SKIP_1) | instid1(VALU_DEP_2)
	v_and_b32_e32 v74, 0xfffffe00, v2
	v_ashrrev_i32_e32 v2, 9, v2
	v_sub_nc_u32_e32 v76, v48, v74
	s_delay_alu instid0(VALU_DEP_1) | instskip(NEXT) | instid1(VALU_DEP_1)
	v_cmp_lt_i32_e64 s13, 15, v76
	v_add_co_ci_u32_e64 v77, null, v2, v63, s13
	v_cmpx_lt_i32_e32 15, v103
	s_cbranch_execz .LBB4_629
; %bb.624:                              ;   in Loop: Header=BB4_547 Depth=3
	v_add_nc_u64_e32 v[42:43], v[116:117], v[52:53]
	v_add_nc_u64_e32 v[44:45], v[118:119], v[52:53]
	;; [unrolled: 1-line block ×3, first 2 shown]
	s_mov_b32 s44, 0
.LBB4_625:                              ;   Parent Loop BB4_73 Depth=1
                                        ;     Parent Loop BB4_544 Depth=2
                                        ;       Parent Loop BB4_547 Depth=3
                                        ; =>      This Loop Header: Depth=4
                                        ;           Child Loop BB4_626 Depth 5
	global_load_b128 v[2:5], v[42:43], off th:TH_LOAD_NT
	s_mov_b64 s[16:17], 0
	s_mov_b32 s45, -1
.LBB4_626:                              ;   Parent Loop BB4_73 Depth=1
                                        ;     Parent Loop BB4_544 Depth=2
                                        ;       Parent Loop BB4_547 Depth=3
                                        ;         Parent Loop BB4_625 Depth=4
                                        ; =>        This Inner Loop Header: Depth=5
	s_cmp_eq_u32 s16, 1
	s_cselect_b32 vcc_lo, -1, 0
	s_cmp_eq_u32 s16, 0
	s_wait_xcnt 0x0
	v_dual_cndmask_b32 v79, v45, v47 :: v_dual_cndmask_b32 v78, v44, v46
	s_cselect_b32 s14, -1, 0
	s_and_b32 s15, exec_lo, s45
	s_mov_b64 s[16:17], 1
	s_mov_b32 s45, 0
	v_add_nc_u64_e32 v[88:89], 0x200, v[78:79]
	s_wait_loadcnt 0x0
	global_store_b128 v[78:79], v[2:5], off th:TH_STORE_NT
	v_dual_cndmask_b32 v47, v47, v89 :: v_dual_cndmask_b32 v46, v46, v88
	v_dual_cndmask_b32 v45, v45, v89, s14 :: v_dual_cndmask_b32 v44, v44, v88, s14
	s_mov_b32 vcc_lo, s15
	s_cbranch_vccnz .LBB4_626
; %bb.627:                              ;   in Loop: Header=BB4_625 Depth=4
	v_dual_sub_nc_u32 v103, v103, v60 :: v_dual_sub_nc_u32 v77, v77, v50
	s_delay_alu instid0(VALU_DEP_2)
	v_add_nc_u64_e32 v[44:45], v[44:45], v[82:83]
	v_add_nc_u64_e32 v[46:47], v[46:47], v[82:83]
	s_wait_xcnt 0x1
	v_add_nc_u64_e32 v[42:43], v[86:87], v[42:43]
	v_cmp_gt_i32_e32 vcc_lo, 16, v103
	s_or_b32 s44, vcc_lo, s44
	s_wait_xcnt 0x0
	s_and_not1_b32 exec_lo, exec_lo, s44
	s_cbranch_execnz .LBB4_625
; %bb.628:                              ;   in Loop: Header=BB4_547 Depth=3
	s_or_b32 exec_lo, exec_lo, s44
.LBB4_629:                              ;   in Loop: Header=BB4_547 Depth=3
	s_delay_alu instid0(SALU_CYCLE_1) | instskip(SKIP_3) | instid1(VALU_DEP_1)
	s_or_b32 exec_lo, exec_lo, s43
	v_dual_mov_b32 v103, 0 :: v_dual_bitop2_b32 v3, 15, v48 bitop3:0x40
	s_mov_b32 s14, 0
	s_mov_b32 s43, exec_lo
                                        ; implicit-def: $vgpr113
                                        ; implicit-def: $vgpr42
                                        ; implicit-def: $vgpr2
	v_cndmask_b32_e64 v75, v76, v3, s13
	s_delay_alu instid0(VALU_DEP_1)
	v_cmpx_ne_u32_e32 0, v75
	s_cbranch_execz .LBB4_639
; %bb.630:                              ;   in Loop: Header=BB4_547 Depth=3
	v_cmp_lt_i32_e32 vcc_lo, 0, v77
	s_mov_b32 s44, exec_lo
	v_ashrrev_i32_e32 v5, 31, v75
	v_dual_cndmask_b32 v2, 0, v50 :: v_dual_sub_nc_u32 v3, v76, v3
	s_delay_alu instid0(VALU_DEP_1) | instskip(NEXT) | instid1(VALU_DEP_2)
	v_dual_lshrrev_b32 v5, 23, v5 :: v_dual_cndmask_b32 v3, 0, v3, s13
	v_sub_nc_u32_e32 v2, v2, v77
	s_delay_alu instid0(VALU_DEP_2) | instskip(NEXT) | instid1(VALU_DEP_2)
	v_add_nc_u32_e32 v5, v75, v5
	v_lshl_add_u32 v2, v2, 5, v62
	s_delay_alu instid0(VALU_DEP_2) | instskip(NEXT) | instid1(VALU_DEP_1)
	v_and_b32_e32 v77, 0xfffffe00, v5
	v_dual_ashrrev_i32 v4, 31, v2 :: v_dual_sub_nc_u32 v76, v75, v77
	s_delay_alu instid0(VALU_DEP_1) | instskip(NEXT) | instid1(VALU_DEP_2)
	v_lshrrev_b32_e32 v4, 27, v4
	v_cmp_lt_i32_e64 s13, 15, v76
	s_delay_alu instid0(VALU_DEP_2) | instskip(NEXT) | instid1(VALU_DEP_1)
	v_add_nc_u32_e32 v4, v2, v4
	v_and_b32_e32 v103, 0xffffffe0, v4
	s_delay_alu instid0(VALU_DEP_1) | instskip(NEXT) | instid1(VALU_DEP_1)
	v_dual_ashrrev_i32 v4, 5, v4 :: v_dual_sub_nc_u32 v78, v2, v103
	v_lshlrev_b32_e32 v2, 4, v78
	s_delay_alu instid0(VALU_DEP_1) | instskip(NEXT) | instid1(VALU_DEP_1)
	v_lshl_add_u32 v2, v4, 9, v2
	v_dual_ashrrev_i32 v5, 9, v5 :: v_dual_sub_nc_u32 v103, v75, v2
	s_delay_alu instid0(VALU_DEP_1) | instskip(NEXT) | instid1(VALU_DEP_1)
	v_add_co_ci_u32_e64 v5, null, 0, v5, s13
	v_dual_add_nc_u32 v74, v3, v74 :: v_dual_sub_nc_u32 v79, v5, v4
	s_delay_alu instid0(VALU_DEP_3)
	v_cmpx_lt_i32_e32 15, v103
	s_cbranch_execz .LBB4_636
; %bb.631:                              ;   in Loop: Header=BB4_547 Depth=3
	s_delay_alu instid0(VALU_DEP_2) | instskip(SKIP_1) | instid1(VALU_DEP_1)
	v_add_nc_u32_e32 v2, v2, v74
	s_mov_b32 s45, 0
	v_ashrrev_i32_e32 v3, 31, v2
	s_delay_alu instid0(VALU_DEP_1)
	v_add_nc_u64_e32 v[42:43], v[2:3], v[116:117]
	v_add_nc_u64_e32 v[44:45], v[2:3], v[118:119]
	;; [unrolled: 1-line block ×3, first 2 shown]
.LBB4_632:                              ;   Parent Loop BB4_73 Depth=1
                                        ;     Parent Loop BB4_544 Depth=2
                                        ;       Parent Loop BB4_547 Depth=3
                                        ; =>      This Loop Header: Depth=4
                                        ;           Child Loop BB4_633 Depth 5
	global_load_b128 v[2:5], v[42:43], off th:TH_LOAD_NT
	s_mov_b64 s[16:17], 0
	s_mov_b32 s46, -1
.LBB4_633:                              ;   Parent Loop BB4_73 Depth=1
                                        ;     Parent Loop BB4_544 Depth=2
                                        ;       Parent Loop BB4_547 Depth=3
                                        ;         Parent Loop BB4_632 Depth=4
                                        ; =>        This Inner Loop Header: Depth=5
	s_cmp_eq_u32 s16, 1
	s_cselect_b32 vcc_lo, -1, 0
	s_cmp_eq_u32 s16, 0
	s_wait_xcnt 0x0
	v_dual_cndmask_b32 v89, v45, v47 :: v_dual_cndmask_b32 v88, v44, v46
	s_cselect_b32 s14, -1, 0
	s_and_b32 s15, exec_lo, s46
	s_mov_b64 s[16:17], 1
	s_mov_b32 s46, 0
	v_add_nc_u64_e32 v[90:91], 0x200, v[88:89]
	s_wait_loadcnt 0x0
	global_store_b128 v[88:89], v[2:5], off th:TH_STORE_NT
	v_dual_cndmask_b32 v47, v47, v91 :: v_dual_cndmask_b32 v46, v46, v90
	v_dual_cndmask_b32 v45, v45, v91, s14 :: v_dual_cndmask_b32 v44, v44, v90, s14
	s_mov_b32 vcc_lo, s15
	s_cbranch_vccnz .LBB4_633
; %bb.634:                              ;   in Loop: Header=BB4_632 Depth=4
	v_sub_nc_u32_e32 v103, v103, v60
	s_delay_alu instid0(VALU_DEP_2)
	v_add_nc_u64_e32 v[44:45], v[44:45], v[82:83]
	v_add_nc_u64_e32 v[46:47], v[46:47], v[82:83]
	s_wait_xcnt 0x1
	v_add_nc_u64_e32 v[42:43], v[86:87], v[42:43]
	v_sub_nc_u32_e32 v79, v79, v50
	v_cmp_gt_i32_e32 vcc_lo, 16, v103
	s_or_b32 s45, vcc_lo, s45
	s_wait_xcnt 0x0
	s_and_not1_b32 exec_lo, exec_lo, s45
	s_cbranch_execnz .LBB4_632
; %bb.635:                              ;   in Loop: Header=BB4_547 Depth=3
	s_or_b32 exec_lo, exec_lo, s45
.LBB4_636:                              ;   in Loop: Header=BB4_547 Depth=3
	s_delay_alu instid0(SALU_CYCLE_1) | instskip(SKIP_3) | instid1(VALU_DEP_1)
	s_or_b32 exec_lo, exec_lo, s44
	v_dual_mov_b32 v103, 0 :: v_dual_bitop2_b32 v3, 15, v75 bitop3:0x40
	s_mov_b32 s14, 0
	s_mov_b32 s15, exec_lo
                                        ; implicit-def: $vgpr42
                                        ; implicit-def: $vgpr2
	v_cndmask_b32_e64 v113, v76, v3, s13
	s_delay_alu instid0(VALU_DEP_1)
	v_cmpx_ne_u32_e32 0, v113
	s_cbranch_execz .LBB4_638
; %bb.637:                              ;   in Loop: Header=BB4_547 Depth=3
	v_cmp_lt_i32_e32 vcc_lo, 0, v79
	s_mov_b32 s14, exec_lo
	v_dual_cndmask_b32 v2, 0, v50 :: v_dual_sub_nc_u32 v3, v76, v3
	s_delay_alu instid0(VALU_DEP_1) | instskip(NEXT) | instid1(VALU_DEP_2)
	v_cndmask_b32_e64 v3, 0, v3, s13
	v_sub_nc_u32_e32 v2, v2, v79
	s_delay_alu instid0(VALU_DEP_2) | instskip(NEXT) | instid1(VALU_DEP_2)
	v_add3_u32 v103, v77, v74, v3
	v_lshl_add_u32 v42, v2, 5, v78
	s_delay_alu instid0(VALU_DEP_1) | instskip(NEXT) | instid1(VALU_DEP_1)
	v_ashrrev_i32_e32 v2, 31, v42
	v_lshrrev_b32_e32 v2, 27, v2
	s_delay_alu instid0(VALU_DEP_1) | instskip(NEXT) | instid1(VALU_DEP_1)
	v_add_nc_u32_e32 v2, v42, v2
	v_ashrrev_i32_e32 v2, 5, v2
.LBB4_638:                              ;   in Loop: Header=BB4_547 Depth=3
	s_or_b32 exec_lo, exec_lo, s15
	s_delay_alu instid0(SALU_CYCLE_1)
	s_and_b32 s14, s14, exec_lo
.LBB4_639:                              ;   in Loop: Header=BB4_547 Depth=3
	s_or_b32 exec_lo, exec_lo, s43
	s_and_saveexec_b32 s15, s14
	s_cbranch_execz .LBB4_650
.LBB4_640:                              ;   in Loop: Header=BB4_547 Depth=3
	v_ashrrev_i32_e32 v3, 31, v113
	s_mov_b32 s13, exec_lo
	s_delay_alu instid0(VALU_DEP_1) | instskip(NEXT) | instid1(VALU_DEP_1)
	v_lshrrev_b32_e32 v3, 24, v3
	v_add_nc_u32_e32 v3, v113, v3
	s_delay_alu instid0(VALU_DEP_1) | instskip(NEXT) | instid1(VALU_DEP_1)
	v_dual_ashrrev_i32 v45, 8, v3 :: v_dual_ashrrev_i32 v3, 31, v42
	v_dual_sub_nc_u32 v43, v45, v2 :: v_dual_lshrrev_b32 v44, 27, v3
	s_delay_alu instid0(VALU_DEP_1)
	v_cmpx_lt_i32_e32 0, v43
	s_cbranch_execz .LBB4_644
; %bb.641:                              ;   in Loop: Header=BB4_547 Depth=3
	s_delay_alu instid0(VALU_DEP_2) | instskip(SKIP_2) | instid1(VALU_DEP_2)
	v_dual_add_nc_u32 v3, v42, v44 :: v_dual_lshlrev_b32 v2, 8, v2
	v_add_nc_u64_e32 v[74:75], 0xe0, v[116:117]
	s_mov_b32 s14, 0
	v_and_b32_e32 v3, 0xffffffe0, v3
	s_delay_alu instid0(VALU_DEP_1) | instskip(NEXT) | instid1(VALU_DEP_1)
	v_sub_nc_u32_e32 v3, v42, v3
	v_add3_u32 v46, v103, v3, v2
	s_delay_alu instid0(VALU_DEP_1) | instskip(NEXT) | instid1(VALU_DEP_1)
	v_ashrrev_i32_e32 v47, 31, v46
	v_add_nc_u64_e32 v[2:3], v[46:47], v[118:119]
	v_add_nc_u64_e32 v[4:5], v[46:47], v[40:41]
	;; [unrolled: 1-line block ×3, first 2 shown]
.LBB4_642:                              ;   Parent Loop BB4_73 Depth=1
                                        ;     Parent Loop BB4_544 Depth=2
                                        ;       Parent Loop BB4_547 Depth=3
                                        ; =>      This Inner Loop Header: Depth=4
	s_clause 0x7
	flat_load_u8 v46, v[40:41] offset:-224 th:TH_LOAD_NT
	flat_load_u8 v47, v[40:41] offset:-192 th:TH_LOAD_NT
	;; [unrolled: 1-line block ×7, first 2 shown]
	flat_load_u8 v79, v[40:41] th:TH_LOAD_NT
	v_sub_nc_u32_e32 v43, v43, v50
	s_wait_xcnt 0x0
	v_add_nc_u64_e32 v[40:41], v[40:41], v[68:69]
	s_wait_loadcnt_dscnt 0x707
	flat_store_b8 v[2:3], v46 th:TH_STORE_NT
	s_wait_loadcnt_dscnt 0x607
	flat_store_b8 v[2:3], v47 offset:32 th:TH_STORE_NT
	s_wait_loadcnt_dscnt 0x507
	flat_store_b8 v[2:3], v74 offset:64 th:TH_STORE_NT
	;; [unrolled: 2-line block ×7, first 2 shown]
	s_clause 0x7
	flat_store_b8 v[4:5], v46 th:TH_STORE_NT
	flat_store_b8 v[4:5], v47 offset:32 th:TH_STORE_NT
	flat_store_b8 v[4:5], v74 offset:64 th:TH_STORE_NT
	;; [unrolled: 1-line block ×7, first 2 shown]
	v_cmp_gt_i32_e32 vcc_lo, 1, v43
	s_wait_xcnt 0x8
	v_add_nc_u64_e32 v[2:3], v[2:3], v[68:69]
	s_wait_xcnt 0x0
	v_add_nc_u64_e32 v[4:5], v[4:5], v[68:69]
	s_or_b32 s14, vcc_lo, s14
	s_delay_alu instid0(SALU_CYCLE_1)
	s_and_not1_b32 exec_lo, exec_lo, s14
	s_cbranch_execnz .LBB4_642
; %bb.643:                              ;   in Loop: Header=BB4_547 Depth=3
	s_or_b32 exec_lo, exec_lo, s14
.LBB4_644:                              ;   in Loop: Header=BB4_547 Depth=3
	s_delay_alu instid0(SALU_CYCLE_1) | instskip(SKIP_1) | instid1(VALU_DEP_1)
	s_or_b32 exec_lo, exec_lo, s13
	v_lshlrev_b32_e32 v2, 8, v45
	v_cmp_ne_u32_e32 vcc_lo, v113, v2
	s_and_b32 exec_lo, exec_lo, vcc_lo
	s_cbranch_execz .LBB4_650
; %bb.645:                              ;   in Loop: Header=BB4_547 Depth=3
	v_dual_add_nc_u32 v3, v42, v44 :: v_dual_lshlrev_b32 v4, 5, v43
	s_delay_alu instid0(VALU_DEP_1) | instskip(NEXT) | instid1(VALU_DEP_1)
	v_and_b32_e32 v3, 0xffffffe0, v3
	v_sub_nc_u32_e32 v3, v42, v3
	s_delay_alu instid0(VALU_DEP_1) | instskip(NEXT) | instid1(VALU_DEP_1)
	v_sub_nc_u32_e32 v3, v3, v4
	v_add_nc_u32_e32 v2, v2, v3
	s_delay_alu instid0(VALU_DEP_1) | instskip(NEXT) | instid1(VALU_DEP_1)
	v_sub_nc_u32_e32 v113, v113, v2
	v_cmp_lt_i32_e32 vcc_lo, 0, v113
	s_and_b32 exec_lo, exec_lo, vcc_lo
	s_cbranch_execz .LBB4_650
; %bb.646:                              ;   in Loop: Header=BB4_547 Depth=3
	s_trap 2
	ds_load_b64 v[4:5], v0
	ds_load_b128 v[40:43], v0
	v_add_nc_u32_e32 v44, v2, v103
	s_mov_b32 s43, 0
	s_delay_alu instid0(VALU_DEP_1) | instskip(SKIP_1) | instid1(VALU_DEP_1)
	v_ashrrev_i32_e32 v45, 31, v44
	s_wait_dscnt 0x1
	v_add_nc_u64_e32 v[2:3], v[4:5], v[44:45]
	s_wait_dscnt 0x0
	v_add_nc_u64_e32 v[4:5], v[40:41], v[44:45]
	v_add_nc_u64_e32 v[40:41], v[42:43], v[44:45]
.LBB4_647:                              ;   Parent Loop BB4_73 Depth=1
                                        ;     Parent Loop BB4_544 Depth=2
                                        ;       Parent Loop BB4_547 Depth=3
                                        ; =>      This Loop Header: Depth=4
                                        ;           Child Loop BB4_648 Depth 5
	flat_load_u8 v103, v[2:3] th:TH_LOAD_NT
	s_mov_b64 s[16:17], 0
	s_mov_b32 s44, -1
.LBB4_648:                              ;   Parent Loop BB4_73 Depth=1
                                        ;     Parent Loop BB4_544 Depth=2
                                        ;       Parent Loop BB4_547 Depth=3
                                        ;         Parent Loop BB4_647 Depth=4
                                        ; =>        This Inner Loop Header: Depth=5
	s_cmp_eq_u32 s16, 1
	s_cselect_b32 vcc_lo, -1, 0
	s_cmp_eq_u32 s16, 0
	s_wait_xcnt 0x0
	v_dual_cndmask_b32 v43, v5, v41 :: v_dual_cndmask_b32 v42, v4, v40
	s_cselect_b32 s13, -1, 0
	s_and_b32 s14, exec_lo, s44
	s_mov_b64 s[16:17], 1
	s_mov_b32 s44, 0
	v_add_nc_u64_e32 v[44:45], 32, v[42:43]
	s_wait_loadcnt_dscnt 0x0
	flat_store_b8 v[42:43], v103 th:TH_STORE_NT
	v_dual_cndmask_b32 v41, v41, v45 :: v_dual_cndmask_b32 v40, v40, v44
	v_dual_cndmask_b32 v5, v5, v45, s13 :: v_dual_cndmask_b32 v4, v4, v44, s13
	s_mov_b32 vcc_lo, s14
	s_cbranch_vccnz .LBB4_648
; %bb.649:                              ;   in Loop: Header=BB4_647 Depth=4
	v_sub_nc_u32_e32 v113, v113, v57
	s_delay_alu instid0(VALU_DEP_2)
	v_add_nc_u64_e32 v[4:5], v[4:5], v[70:71]
	v_add_nc_u64_e32 v[40:41], v[40:41], v[70:71]
	s_wait_xcnt 0x1
	v_add_nc_u64_e32 v[2:3], v[84:85], v[2:3]
	v_cmp_gt_i32_e32 vcc_lo, 1, v113
	s_or_b32 s43, vcc_lo, s43
	s_wait_xcnt 0x0
	s_and_not1_b32 exec_lo, exec_lo, s43
	s_cbranch_execnz .LBB4_647
.LBB4_650:                              ;   in Loop: Header=BB4_547 Depth=3
	s_or_b32 exec_lo, exec_lo, s15
	s_mov_b32 s13, 0
.LBB4_651:                              ;   in Loop: Header=BB4_547 Depth=3
	s_delay_alu instid0(SALU_CYCLE_1)
	s_and_b32 vcc_lo, exec_lo, s13
	s_cbranch_vccz .LBB4_680
; %bb.652:                              ;   in Loop: Header=BB4_547 Depth=3
	s_mov_b32 s13, -1
	s_and_saveexec_b32 s14, s11
	s_cbranch_execz .LBB4_654
; %bb.653:                              ;   in Loop: Header=BB4_547 Depth=3
	ds_load_b32 v2, v0 offset:720
	s_wait_dscnt 0x0
	v_and_b32_e32 v2, 15, v2
	s_delay_alu instid0(VALU_DEP_1)
	v_cmp_eq_u32_e32 vcc_lo, 0, v2
	s_or_not1_b32 s13, vcc_lo, exec_lo
.LBB4_654:                              ;   in Loop: Header=BB4_547 Depth=3
	s_or_b32 exec_lo, exec_lo, s14
	s_and_saveexec_b32 s14, s6
	s_cbranch_execz .LBB4_656
; %bb.655:                              ;   in Loop: Header=BB4_547 Depth=3
	ds_load_b32 v2, v0 offset:784
	s_wait_dscnt 0x0
	v_and_b32_e32 v2, 15, v2
	s_delay_alu instid0(VALU_DEP_1) | instskip(SKIP_3) | instid1(SALU_CYCLE_1)
	v_cmp_eq_u32_e32 vcc_lo, 0, v2
	s_and_b32 s15, s13, vcc_lo
	s_and_not1_b32 s13, s13, exec_lo
	s_and_b32 s15, s15, exec_lo
	s_or_b32 s13, s13, s15
.LBB4_656:                              ;   in Loop: Header=BB4_547 Depth=3
	s_or_b32 exec_lo, exec_lo, s14
	s_xor_b32 s13, s13, -1
	v_dual_mov_b32 v4, 0 :: v_dual_mov_b32 v5, v48
	v_cndmask_b32_e64 v2, 0, 1, s13
	v_mov_b32_e32 v103, v0
	s_mov_b32 s15, -1
	s_delay_alu instid0(VALU_DEP_2)
	v_cmp_ne_u32_e32 vcc_lo, 0, v2
	v_mov_b32_e32 v2, v61
	s_cbranch_vccz .LBB4_658
; %bb.657:                              ;   in Loop: Header=BB4_547 Depth=3
	s_and_saveexec_b32 s13, s15
	s_cbranch_execnz .LBB4_671
	s_branch .LBB4_679
.LBB4_658:                              ;   in Loop: Header=BB4_547 Depth=3
	v_ashrrev_i32_e32 v2, 31, v48
	s_mov_b32 s13, exec_lo
	s_delay_alu instid0(VALU_DEP_1) | instskip(NEXT) | instid1(VALU_DEP_1)
	v_lshrrev_b32_e32 v2, 22, v2
	v_add_nc_u32_e32 v2, v48, v2
	s_delay_alu instid0(VALU_DEP_1) | instskip(NEXT) | instid1(VALU_DEP_1)
	v_ashrrev_i32_e32 v4, 10, v2
	v_sub_nc_u32_e32 v40, v4, v61
	s_delay_alu instid0(VALU_DEP_1)
	v_cmpx_lt_i32_e32 0, v40
	s_cbranch_execz .LBB4_662
; %bb.659:                              ;   in Loop: Header=BB4_547 Depth=3
	v_mov_b64_e32 v[2:3], v[96:97]
	s_mov_b32 s14, 0
.LBB4_660:                              ;   Parent Loop BB4_73 Depth=1
                                        ;     Parent Loop BB4_544 Depth=2
                                        ;       Parent Loop BB4_547 Depth=3
                                        ; =>      This Inner Loop Header: Depth=4
	s_delay_alu instid0(VALU_DEP_1)
	v_add_nc_u64_e32 v[46:47], v[116:117], v[2:3]
	v_sub_nc_u32_e32 v40, v40, v50
	s_clause 0x1
	global_load_b128 v[42:45], v[46:47], off th:TH_LOAD_NT
	global_load_b128 v[74:77], v[46:47], off offset:512 th:TH_LOAD_NT
	s_wait_xcnt 0x0
	v_add_nc_u64_e32 v[46:47], v[118:119], v[2:3]
	v_cmp_gt_i32_e32 vcc_lo, 1, v40
	v_add_nc_u64_e32 v[2:3], v[2:3], v[80:81]
	s_wait_loadcnt 0x1
	global_store_b128 v[46:47], v[42:45], off th:TH_STORE_NT
	s_wait_loadcnt 0x0
	global_store_b128 v[46:47], v[74:77], off offset:512 th:TH_STORE_NT
	s_or_b32 s14, vcc_lo, s14
	s_wait_xcnt 0x0
	s_and_not1_b32 exec_lo, exec_lo, s14
	s_cbranch_execnz .LBB4_660
; %bb.661:                              ;   in Loop: Header=BB4_547 Depth=3
	s_or_b32 exec_lo, exec_lo, s14
.LBB4_662:                              ;   in Loop: Header=BB4_547 Depth=3
	s_delay_alu instid0(SALU_CYCLE_1) | instskip(SKIP_3) | instid1(VALU_DEP_1)
	s_or_b32 exec_lo, exec_lo, s13
	v_dual_mov_b32 v4, 0 :: v_dual_lshlrev_b32 v113, 10, v4
	s_mov_b32 s15, 0
	s_mov_b32 s14, exec_lo
                                        ; implicit-def: $vgpr5
                                        ; implicit-def: $vgpr103
                                        ; implicit-def: $vgpr2
	v_cmpx_ne_u32_e64 v48, v113
	s_cbranch_execz .LBB4_670
; %bb.663:                              ;   in Loop: Header=BB4_547 Depth=3
	v_dual_lshlrev_b32 v2, 5, v40 :: v_dual_sub_nc_u32 v4, v48, v113
	s_mov_b32 s15, exec_lo
	s_delay_alu instid0(VALU_DEP_1) | instskip(NEXT) | instid1(VALU_DEP_1)
	v_dual_sub_nc_u32 v2, v62, v2 :: v_dual_ashrrev_i32 v5, 31, v4
	v_dual_ashrrev_i32 v3, 31, v2 :: v_dual_lshrrev_b32 v5, 23, v5
	s_delay_alu instid0(VALU_DEP_1) | instskip(NEXT) | instid1(VALU_DEP_1)
	v_lshrrev_b32_e32 v3, 27, v3
	v_add_nc_u32_e32 v3, v2, v3
	s_delay_alu instid0(VALU_DEP_1) | instskip(NEXT) | instid1(VALU_DEP_1)
	v_and_b32_e32 v103, 0xffffffe0, v3
	v_dual_add_nc_u32 v5, v4, v5 :: v_dual_sub_nc_u32 v41, v2, v103
	s_delay_alu instid0(VALU_DEP_1) | instskip(SKIP_1) | instid1(VALU_DEP_2)
	v_and_b32_e32 v40, 0xfffffe00, v5
	v_dual_ashrrev_i32 v3, 5, v3 :: v_dual_ashrrev_i32 v5, 9, v5
	v_dual_lshlrev_b32 v2, 4, v41 :: v_dual_sub_nc_u32 v42, v4, v40
	s_delay_alu instid0(VALU_DEP_1) | instskip(NEXT) | instid1(VALU_DEP_2)
	v_lshl_add_u32 v2, v3, 9, v2
	v_cmp_lt_i32_e32 vcc_lo, 15, v42
	s_delay_alu instid0(VALU_DEP_4) | instskip(NEXT) | instid1(VALU_DEP_1)
	v_add_co_ci_u32_e64 v5, null, 0, v5, vcc_lo
	v_dual_sub_nc_u32 v4, v4, v2 :: v_dual_sub_nc_u32 v43, v5, v3
	s_delay_alu instid0(VALU_DEP_1)
	v_cmpx_lt_i32_e32 15, v4
	s_cbranch_execz .LBB4_667
; %bb.664:                              ;   in Loop: Header=BB4_547 Depth=3
	v_add_nc_u32_e32 v2, v2, v113
	s_mov_b32 s16, 0
	s_delay_alu instid0(VALU_DEP_1)
	v_ashrrev_i32_e32 v3, 31, v2
.LBB4_665:                              ;   Parent Loop BB4_73 Depth=1
                                        ;     Parent Loop BB4_544 Depth=2
                                        ;       Parent Loop BB4_547 Depth=3
                                        ; =>      This Inner Loop Header: Depth=4
	s_delay_alu instid0(VALU_DEP_1) | instskip(SKIP_3) | instid1(VALU_DEP_3)
	v_add_nc_u64_e32 v[44:45], v[116:117], v[2:3]
	v_dual_sub_nc_u32 v4, v4, v60 :: v_dual_sub_nc_u32 v43, v43, v50
	v_add_nc_u64_e32 v[74:75], v[118:119], v[2:3]
	v_add_nc_u64_e32 v[2:3], v[2:3], v[86:87]
	v_cmp_gt_i32_e64 s13, 16, v4
	global_load_b128 v[44:47], v[44:45], off th:TH_LOAD_NT
	s_or_b32 s16, s13, s16
	s_wait_loadcnt 0x0
	global_store_b128 v[74:75], v[44:47], off th:TH_STORE_NT
	s_wait_xcnt 0x0
	s_and_not1_b32 exec_lo, exec_lo, s16
	s_cbranch_execnz .LBB4_665
; %bb.666:                              ;   in Loop: Header=BB4_547 Depth=3
	s_or_b32 exec_lo, exec_lo, s16
.LBB4_667:                              ;   in Loop: Header=BB4_547 Depth=3
	s_delay_alu instid0(SALU_CYCLE_1) | instskip(SKIP_3) | instid1(VALU_DEP_1)
	s_or_b32 exec_lo, exec_lo, s15
	v_dual_mov_b32 v4, 0 :: v_dual_bitop2_b32 v3, 15, v48 bitop3:0x40
	s_mov_b32 s15, 0
	s_mov_b32 s16, exec_lo
                                        ; implicit-def: $vgpr103
                                        ; implicit-def: $vgpr2
	v_cndmask_b32_e32 v5, v42, v3, vcc_lo
	s_delay_alu instid0(VALU_DEP_1)
	v_cmpx_ne_u32_e32 0, v5
	s_cbranch_execz .LBB4_669
; %bb.668:                              ;   in Loop: Header=BB4_547 Depth=3
	v_cmp_lt_i32_e64 s13, 0, v43
	s_mov_b32 s15, exec_lo
	v_dual_sub_nc_u32 v3, v42, v3 :: v_dual_cndmask_b32 v2, 0, v50, s13
	s_delay_alu instid0(VALU_DEP_1) | instskip(NEXT) | instid1(VALU_DEP_2)
	v_cndmask_b32_e32 v3, 0, v3, vcc_lo
	v_sub_nc_u32_e32 v2, v2, v43
	s_delay_alu instid0(VALU_DEP_2) | instskip(NEXT) | instid1(VALU_DEP_2)
	v_add3_u32 v4, v40, v113, v3
	v_lshl_add_u32 v103, v2, 5, v41
	s_delay_alu instid0(VALU_DEP_1) | instskip(NEXT) | instid1(VALU_DEP_1)
	v_ashrrev_i32_e32 v2, 31, v103
	v_lshrrev_b32_e32 v2, 27, v2
	s_delay_alu instid0(VALU_DEP_1) | instskip(NEXT) | instid1(VALU_DEP_1)
	v_add_nc_u32_e32 v2, v103, v2
	v_ashrrev_i32_e32 v2, 5, v2
.LBB4_669:                              ;   in Loop: Header=BB4_547 Depth=3
	s_or_b32 exec_lo, exec_lo, s16
	s_delay_alu instid0(SALU_CYCLE_1)
	s_and_b32 s15, s15, exec_lo
.LBB4_670:                              ;   in Loop: Header=BB4_547 Depth=3
	s_or_b32 exec_lo, exec_lo, s14
	s_and_saveexec_b32 s13, s15
	s_cbranch_execz .LBB4_679
.LBB4_671:                              ;   in Loop: Header=BB4_547 Depth=3
	v_ashrrev_i32_e32 v3, 31, v5
	s_mov_b32 s14, exec_lo
	s_delay_alu instid0(VALU_DEP_1) | instskip(NEXT) | instid1(VALU_DEP_1)
	v_lshrrev_b32_e32 v3, 24, v3
	v_add_nc_u32_e32 v3, v5, v3
	s_delay_alu instid0(VALU_DEP_1) | instskip(SKIP_1) | instid1(VALU_DEP_1)
	v_ashrrev_i32_e32 v41, 8, v3
	v_ashrrev_i32_e32 v3, 31, v103
	v_dual_lshrrev_b32 v40, 27, v3 :: v_dual_sub_nc_u32 v113, v41, v2
	s_delay_alu instid0(VALU_DEP_1)
	v_cmpx_lt_i32_e32 0, v113
	s_cbranch_execz .LBB4_675
; %bb.672:                              ;   in Loop: Header=BB4_547 Depth=3
	s_delay_alu instid0(VALU_DEP_2) | instskip(SKIP_1) | instid1(VALU_DEP_1)
	v_dual_add_nc_u32 v3, v103, v40 :: v_dual_lshlrev_b32 v2, 8, v2
	s_mov_b32 s15, 0
	v_and_b32_e32 v3, 0xffffffe0, v3
	s_delay_alu instid0(VALU_DEP_1) | instskip(NEXT) | instid1(VALU_DEP_1)
	v_sub_nc_u32_e32 v3, v103, v3
	v_add3_u32 v2, v4, v3, v2
	s_delay_alu instid0(VALU_DEP_1)
	v_ashrrev_i32_e32 v3, 31, v2
.LBB4_673:                              ;   Parent Loop BB4_73 Depth=1
                                        ;     Parent Loop BB4_544 Depth=2
                                        ;       Parent Loop BB4_547 Depth=3
                                        ; =>      This Inner Loop Header: Depth=4
	s_delay_alu instid0(VALU_DEP_1)
	v_add_nc_u64_e32 v[42:43], v[2:3], v[116:117]
	v_sub_nc_u32_e32 v113, v113, v50
	v_add_nc_u64_e32 v[116:117], v[116:117], v[68:69]
	s_clause 0x7
	flat_load_u8 v44, v[42:43] th:TH_LOAD_NT
	flat_load_u8 v45, v[42:43] offset:32 th:TH_LOAD_NT
	flat_load_u8 v46, v[42:43] offset:64 th:TH_LOAD_NT
	;; [unrolled: 1-line block ×7, first 2 shown]
	s_wait_xcnt 0x0
	v_add_nc_u64_e32 v[42:43], v[2:3], v[118:119]
	v_add_nc_u64_e32 v[118:119], v[118:119], v[68:69]
	v_cmp_gt_i32_e32 vcc_lo, 1, v113
	s_wait_loadcnt_dscnt 0x707
	flat_store_b8 v[42:43], v44 th:TH_STORE_NT
	s_wait_loadcnt_dscnt 0x607
	flat_store_b8 v[42:43], v45 offset:32 th:TH_STORE_NT
	s_wait_loadcnt_dscnt 0x507
	flat_store_b8 v[42:43], v46 offset:64 th:TH_STORE_NT
	;; [unrolled: 2-line block ×7, first 2 shown]
	s_or_b32 s15, vcc_lo, s15
	s_wait_xcnt 0x0
	s_and_not1_b32 exec_lo, exec_lo, s15
	s_cbranch_execnz .LBB4_673
; %bb.674:                              ;   in Loop: Header=BB4_547 Depth=3
	s_or_b32 exec_lo, exec_lo, s15
.LBB4_675:                              ;   in Loop: Header=BB4_547 Depth=3
	s_delay_alu instid0(SALU_CYCLE_1) | instskip(SKIP_1) | instid1(VALU_DEP_1)
	s_or_b32 exec_lo, exec_lo, s14
	v_lshlrev_b32_e32 v2, 8, v41
	v_cmp_ne_u32_e32 vcc_lo, v5, v2
	s_and_b32 exec_lo, exec_lo, vcc_lo
	s_cbranch_execz .LBB4_679
; %bb.676:                              ;   in Loop: Header=BB4_547 Depth=3
	v_add_nc_u32_e32 v3, v103, v40
	s_delay_alu instid0(VALU_DEP_1) | instskip(NEXT) | instid1(VALU_DEP_1)
	v_and_b32_e32 v3, 0xffffffe0, v3
	v_dual_sub_nc_u32 v3, v103, v3 :: v_dual_lshlrev_b32 v103, 5, v113
	s_delay_alu instid0(VALU_DEP_1) | instskip(NEXT) | instid1(VALU_DEP_1)
	v_sub_nc_u32_e32 v3, v3, v103
	v_add_nc_u32_e32 v113, v2, v3
	s_delay_alu instid0(VALU_DEP_1) | instskip(NEXT) | instid1(VALU_DEP_1)
	v_sub_nc_u32_e32 v103, v5, v113
	v_cmp_lt_i32_e32 vcc_lo, 0, v103
	s_and_b32 exec_lo, exec_lo, vcc_lo
	s_cbranch_execz .LBB4_679
; %bb.677:                              ;   in Loop: Header=BB4_547 Depth=3
	s_trap 2
	ds_load_b64 v[2:3], v0
	v_add_nc_u32_e32 v4, v113, v4
	s_mov_b32 s14, 0
	s_delay_alu instid0(VALU_DEP_1)
	v_ashrrev_i32_e32 v5, 31, v4
.LBB4_678:                              ;   Parent Loop BB4_73 Depth=1
                                        ;     Parent Loop BB4_544 Depth=2
                                        ;       Parent Loop BB4_547 Depth=3
                                        ; =>      This Inner Loop Header: Depth=4
	s_wait_dscnt 0x0
	s_delay_alu instid0(VALU_DEP_1) | instskip(SKIP_2) | instid1(VALU_DEP_2)
	v_add_nc_u64_e32 v[116:117], v[2:3], v[4:5]
	v_sub_nc_u32_e32 v103, v103, v57
	v_add_nc_u64_e32 v[4:5], v[4:5], v[84:85]
	v_cmp_gt_i32_e32 vcc_lo, 1, v103
	flat_load_u8 v113, v[116:117] th:TH_LOAD_NT
	s_or_b32 s14, vcc_lo, s14
	s_wait_loadcnt_dscnt 0x0
	flat_store_b8 v[116:117], v113 th:TH_STORE_NT
	s_wait_xcnt 0x0
	s_and_not1_b32 exec_lo, exec_lo, s14
	s_cbranch_execnz .LBB4_678
.LBB4_679:                              ;   in Loop: Header=BB4_547 Depth=3
	s_or_b32 exec_lo, exec_lo, s13
.LBB4_680:                              ;   in Loop: Header=BB4_547 Depth=3
	v_cmp_lt_i32_e64 s13, 0, v48
	s_and_saveexec_b32 s14, s1
	s_cbranch_execz .LBB4_699
.LBB4_681:                              ;   in Loop: Header=BB4_547 Depth=3
	s_and_saveexec_b32 s15, s2
	s_delay_alu instid0(SALU_CYCLE_1)
	s_xor_b32 s15, exec_lo, s15
	s_cbranch_execz .LBB4_696
; %bb.682:                              ;   in Loop: Header=BB4_547 Depth=3
	s_and_saveexec_b32 s16, s5
	s_cbranch_execz .LBB4_695
; %bb.683:                              ;   in Loop: Header=BB4_547 Depth=3
	s_mov_b32 s43, exec_lo
	s_mov_b32 s17, exec_lo
	v_mbcnt_lo_u32_b32 v2, s43, 0
	global_wb scope:SCOPE_DEV
	s_wait_storecnt 0x0
	s_wait_loadcnt_dscnt 0x0
	global_inv scope:SCOPE_DEV
	v_cmpx_eq_u32_e32 0, v2
	s_cbranch_execz .LBB4_685
; %bb.684:                              ;   in Loop: Header=BB4_547 Depth=3
	s_bcnt1_i32_b32 s43, s43
	s_delay_alu instid0(SALU_CYCLE_1)
	v_mov_b32_e32 v48, s43
	s_wait_loadcnt 0x0
	ds_add_u64 v0, v[48:49]
	s_trap 2
.LBB4_685:                              ;   in Loop: Header=BB4_547 Depth=3
	s_or_b32 exec_lo, exec_lo, s17
	s_trap 2
	ds_load_b64 v[2:3], v0
	s_wait_dscnt 0x0
	v_add_nc_u64_e32 v[14:15], v[14:15], v[50:51]
	s_mov_b32 s17, exec_lo
	s_delay_alu instid0(VALU_DEP_1)
	v_cmpx_lt_u64_e64 v[2:3], v[14:15]
	s_cbranch_execz .LBB4_694
; %bb.686:                              ;   in Loop: Header=BB4_547 Depth=3
	s_mov_b32 s43, 0
	s_mov_b32 s46, 0
                                        ; implicit-def: $sgpr44
                                        ; implicit-def: $sgpr45
	s_branch .LBB4_688
.LBB4_687:                              ;   in Loop: Header=BB4_688 Depth=4
	s_or_b32 exec_lo, exec_lo, s56
	s_delay_alu instid0(SALU_CYCLE_1) | instskip(NEXT) | instid1(SALU_CYCLE_1)
	s_and_b32 s47, exec_lo, s57
	s_or_b32 s43, s47, s43
	s_and_not1_b32 s44, s44, exec_lo
	s_and_b32 s47, s45, exec_lo
	s_delay_alu instid0(SALU_CYCLE_1)
	s_or_b32 s44, s44, s47
	s_and_not1_b32 exec_lo, exec_lo, s43
	s_cbranch_execz .LBB4_692
.LBB4_688:                              ;   Parent Loop BB4_73 Depth=1
                                        ;     Parent Loop BB4_544 Depth=2
                                        ;       Parent Loop BB4_547 Depth=3
                                        ; =>      This Inner Loop Header: Depth=4
	s_add_co_i32 s46, s46, 1
	s_delay_alu instid0(SALU_CYCLE_1) | instskip(SKIP_1) | instid1(SALU_CYCLE_1)
	s_cmp_lg_u32 s46, 0x2710
	s_cselect_b32 s47, -1, 0
	s_and_b32 vcc_lo, exec_lo, s47
	s_cbranch_vccz .LBB4_690
; %bb.689:                              ;   in Loop: Header=BB4_688 Depth=4
	s_mov_b32 s57, -1
	s_or_b32 s45, s45, exec_lo
	s_and_saveexec_b32 s56, s47
	s_cbranch_execz .LBB4_687
	s_branch .LBB4_691
.LBB4_690:                              ;   in Loop: Header=BB4_688 Depth=4
	s_trap 2
	ds_load_b64 v[2:3], v0
	s_and_not1_b32 s47, s47, exec_lo
	s_mov_b32 s46, 0
	s_wait_loadcnt_dscnt 0x0
	flat_load_b32 v2, v[2:3] scope:SCOPE_SYS
	s_wait_loadcnt_dscnt 0x0
	global_inv scope:SCOPE_SYS
	v_cmp_eq_u32_e32 vcc_lo, 0, v2
	s_and_b32 s56, vcc_lo, exec_lo
	s_delay_alu instid0(SALU_CYCLE_1)
	s_or_b32 s47, s47, s56
	s_mov_b32 s57, -1
	s_or_b32 s45, s45, exec_lo
	s_and_saveexec_b32 s56, s47
	s_cbranch_execz .LBB4_687
.LBB4_691:                              ;   in Loop: Header=BB4_688 Depth=4
	s_sleep 1
	s_trap 2
	ds_load_b64 v[2:3], v0
	s_wait_dscnt 0x0
	s_and_not1_b32 s45, s45, exec_lo
	v_cmp_ge_u64_e32 vcc_lo, v[2:3], v[14:15]
	s_or_not1_b32 s57, vcc_lo, exec_lo
	s_branch .LBB4_687
.LBB4_692:                              ;   in Loop: Header=BB4_547 Depth=3
	s_or_b32 exec_lo, exec_lo, s43
	s_and_saveexec_b32 s43, s44
	s_delay_alu instid0(SALU_CYCLE_1)
	s_xor_b32 s43, exec_lo, s43
	s_cbranch_execz .LBB4_694
; %bb.693:                              ;   in Loop: Header=BB4_547 Depth=3
	ds_store_b32 v0, v58
	s_trap 2
.LBB4_694:                              ;   in Loop: Header=BB4_547 Depth=3
	s_or_b32 exec_lo, exec_lo, s17
	;;#ASMSTART
	s_wakeup
	;;#ASMEND
.LBB4_695:                              ;   in Loop: Header=BB4_547 Depth=3
	s_or_b32 exec_lo, exec_lo, s16
.LBB4_696:                              ;   in Loop: Header=BB4_547 Depth=3
	s_and_not1_saveexec_b32 s15, s15
	s_cbranch_execz .LBB4_698
; %bb.697:                              ;   in Loop: Header=BB4_547 Depth=3
	global_wb scope:SCOPE_DEV
	s_wait_storecnt 0x0
	s_wait_loadcnt_dscnt 0x0
	global_inv scope:SCOPE_DEV
	s_barrier_signal -1
	s_barrier_wait -1
.LBB4_698:                              ;   in Loop: Header=BB4_547 Depth=3
	s_or_b32 exec_lo, exec_lo, s15
.LBB4_699:                              ;   in Loop: Header=BB4_547 Depth=3
	s_delay_alu instid0(SALU_CYCLE_1) | instskip(SKIP_2) | instid1(SALU_CYCLE_1)
	s_or_b32 exec_lo, exec_lo, s14
	v_and_b32_e32 v2, 16, v30
	s_and_saveexec_b32 s14, s7
	s_xor_b32 s14, exec_lo, s14
	s_cbranch_execz .LBB4_703
; %bb.700:                              ;   in Loop: Header=BB4_547 Depth=3
	v_and_b32_e32 v2, 16, v30
	s_delay_alu instid0(VALU_DEP_1) | instskip(SKIP_2) | instid1(SALU_CYCLE_1)
	v_cmp_ne_u32_e32 vcc_lo, 0, v2
	v_and_b32_e32 v2, 16, v30
	s_and_b32 s15, vcc_lo, s13
	s_and_saveexec_b32 s13, s15
	s_cbranch_execz .LBB4_702
; %bb.701:                              ;   in Loop: Header=BB4_547 Depth=3
	v_mov_b32_e32 v2, 1
	global_wb scope:SCOPE_SYS
	s_wait_storecnt 0x0
	s_wait_loadcnt_dscnt 0x0
	global_inv scope:SCOPE_SYS
.LBB4_702:                              ;   in Loop: Header=BB4_547 Depth=3
	s_or_b32 exec_lo, exec_lo, s13
.LBB4_703:                              ;   in Loop: Header=BB4_547 Depth=3
	s_and_not1_saveexec_b32 s13, s14
	s_cbranch_execz .LBB4_722
; %bb.704:                              ;   in Loop: Header=BB4_547 Depth=3
	s_and_saveexec_b32 s14, s2
	s_delay_alu instid0(SALU_CYCLE_1)
	s_xor_b32 s14, exec_lo, s14
	s_cbranch_execz .LBB4_719
; %bb.705:                              ;   in Loop: Header=BB4_547 Depth=3
	s_and_saveexec_b32 s15, s5
	s_cbranch_execz .LBB4_718
; %bb.706:                              ;   in Loop: Header=BB4_547 Depth=3
	s_mov_b32 s17, exec_lo
	s_mov_b32 s16, exec_lo
	v_mbcnt_lo_u32_b32 v3, s17, 0
	;;#ASMSTART
	s_waitcnt lgkmcnt(0) vmcnt(0)
	;;#ASMEND
	s_delay_alu instid0(VALU_DEP_1)
	v_cmpx_eq_u32_e32 0, v3
	s_cbranch_execz .LBB4_708
; %bb.707:                              ;   in Loop: Header=BB4_547 Depth=3
	s_bcnt1_i32_b32 s17, s17
	s_delay_alu instid0(SALU_CYCLE_1)
	v_mov_b32_e32 v48, s17
	s_wait_storecnt 0x0
	s_wait_loadcnt_dscnt 0x0
	ds_add_u64 v0, v[48:49]
	s_trap 2
.LBB4_708:                              ;   in Loop: Header=BB4_547 Depth=3
	s_or_b32 exec_lo, exec_lo, s16
	s_trap 2
	ds_load_b64 v[4:5], v0
	s_wait_dscnt 0x0
	v_add_nc_u64_e32 v[14:15], v[14:15], v[50:51]
	s_mov_b32 s16, exec_lo
	s_delay_alu instid0(VALU_DEP_1)
	v_cmpx_lt_u64_e64 v[4:5], v[14:15]
	s_cbranch_execz .LBB4_717
; %bb.709:                              ;   in Loop: Header=BB4_547 Depth=3
	s_mov_b32 s17, 0
	s_mov_b32 s45, 0
                                        ; implicit-def: $sgpr43
                                        ; implicit-def: $sgpr44
	s_branch .LBB4_711
.LBB4_710:                              ;   in Loop: Header=BB4_711 Depth=4
	s_or_b32 exec_lo, exec_lo, s47
	s_delay_alu instid0(SALU_CYCLE_1) | instskip(NEXT) | instid1(SALU_CYCLE_1)
	s_and_b32 s46, exec_lo, s56
	s_or_b32 s17, s46, s17
	s_and_not1_b32 s43, s43, exec_lo
	s_and_b32 s46, s44, exec_lo
	s_delay_alu instid0(SALU_CYCLE_1)
	s_or_b32 s43, s43, s46
	s_and_not1_b32 exec_lo, exec_lo, s17
	s_cbranch_execz .LBB4_715
.LBB4_711:                              ;   Parent Loop BB4_73 Depth=1
                                        ;     Parent Loop BB4_544 Depth=2
                                        ;       Parent Loop BB4_547 Depth=3
                                        ; =>      This Inner Loop Header: Depth=4
	s_add_co_i32 s45, s45, 1
	s_delay_alu instid0(SALU_CYCLE_1) | instskip(SKIP_1) | instid1(SALU_CYCLE_1)
	s_cmp_lg_u32 s45, 0x2710
	s_cselect_b32 s46, -1, 0
	s_and_b32 vcc_lo, exec_lo, s46
	s_cbranch_vccz .LBB4_713
; %bb.712:                              ;   in Loop: Header=BB4_711 Depth=4
	s_mov_b32 s56, -1
	s_or_b32 s44, s44, exec_lo
	s_and_saveexec_b32 s47, s46
	s_cbranch_execz .LBB4_710
	s_branch .LBB4_714
.LBB4_713:                              ;   in Loop: Header=BB4_711 Depth=4
	s_trap 2
	ds_load_b64 v[4:5], v0
	s_and_not1_b32 s46, s46, exec_lo
	s_mov_b32 s45, 0
	s_wait_storecnt 0x0
	s_wait_loadcnt_dscnt 0x0
	flat_load_b32 v3, v[4:5] scope:SCOPE_SYS
	s_wait_loadcnt_dscnt 0x0
	global_inv scope:SCOPE_SYS
	v_cmp_eq_u32_e32 vcc_lo, 0, v3
	s_and_b32 s47, vcc_lo, exec_lo
	s_delay_alu instid0(SALU_CYCLE_1)
	s_or_b32 s46, s46, s47
	s_mov_b32 s56, -1
	s_or_b32 s44, s44, exec_lo
	s_and_saveexec_b32 s47, s46
	s_cbranch_execz .LBB4_710
.LBB4_714:                              ;   in Loop: Header=BB4_711 Depth=4
	s_sleep 1
	s_trap 2
	ds_load_b64 v[4:5], v0
	s_wait_dscnt 0x0
	s_and_not1_b32 s44, s44, exec_lo
	v_cmp_ge_u64_e32 vcc_lo, v[4:5], v[14:15]
	s_or_not1_b32 s56, vcc_lo, exec_lo
	s_branch .LBB4_710
.LBB4_715:                              ;   in Loop: Header=BB4_547 Depth=3
	s_or_b32 exec_lo, exec_lo, s17
	s_and_saveexec_b32 s17, s43
	s_delay_alu instid0(SALU_CYCLE_1)
	s_xor_b32 s17, exec_lo, s17
	s_cbranch_execz .LBB4_717
; %bb.716:                              ;   in Loop: Header=BB4_547 Depth=3
	ds_store_b32 v0, v58
	s_trap 2
.LBB4_717:                              ;   in Loop: Header=BB4_547 Depth=3
	s_or_b32 exec_lo, exec_lo, s16
	;;#ASMSTART
	s_wakeup
	;;#ASMEND
.LBB4_718:                              ;   in Loop: Header=BB4_547 Depth=3
	s_or_b32 exec_lo, exec_lo, s15
.LBB4_719:                              ;   in Loop: Header=BB4_547 Depth=3
	s_and_not1_saveexec_b32 s14, s14
	s_cbranch_execz .LBB4_721
; %bb.720:                              ;   in Loop: Header=BB4_547 Depth=3
	;;#ASMSTART
	s_waitcnt lgkmcnt(0) vmcnt(0)
	;;#ASMEND
	s_barrier_signal -1
	s_barrier_wait -1
.LBB4_721:                              ;   in Loop: Header=BB4_547 Depth=3
	s_or_b32 exec_lo, exec_lo, s14
.LBB4_722:                              ;   in Loop: Header=BB4_547 Depth=3
	s_delay_alu instid0(SALU_CYCLE_1) | instskip(SKIP_2) | instid1(SALU_CYCLE_1)
	s_or_b32 exec_lo, exec_lo, s13
	v_cmp_ne_u32_e32 vcc_lo, 0, v2
	s_xor_b32 s13, s3, -1
	s_and_b32 s14, vcc_lo, s13
	s_delay_alu instid0(SALU_CYCLE_1)
	s_and_saveexec_b32 s13, s14
	s_cbranch_execz .LBB4_724
; %bb.723:                              ;   in Loop: Header=BB4_547 Depth=3
	global_wb scope:SCOPE_SYS
	s_wait_storecnt 0x0
	s_wait_loadcnt_dscnt 0x0
	flat_store_b32 v[34:35], v58 scope:SCOPE_SYS
.LBB4_724:                              ;   in Loop: Header=BB4_547 Depth=3
	s_wait_xcnt 0x0
	s_or_b32 exec_lo, exec_lo, s13
	v_and_b32_e32 v2, 48, v30
	s_mov_b32 s13, exec_lo
	s_delay_alu instid0(VALU_DEP_1)
	v_cmpx_ne_u32_e32 0, v2
	s_cbranch_execz .LBB4_546
; %bb.725:                              ;   in Loop: Header=BB4_547 Depth=3
	v_add_nc_u64_e32 v[98:99], 2, v[98:99]
	global_wb scope:SCOPE_SYS
	s_wait_storecnt 0x0
	s_wait_loadcnt_dscnt 0x0
	flat_store_b64 v[26:27], v[98:99] scope:SCOPE_SYS
	s_branch .LBB4_546
.LBB4_726:                              ;   in Loop: Header=BB4_544 Depth=2
	s_or_b32 exec_lo, exec_lo, s40
.LBB4_727:                              ;   in Loop: Header=BB4_544 Depth=2
	s_delay_alu instid0(SALU_CYCLE_1) | instskip(NEXT) | instid1(SALU_CYCLE_1)
	s_or_b32 exec_lo, exec_lo, s29
	s_mov_b32 s14, exec_lo
	v_cmpx_gt_i32_e32 2, v2
	s_cbranch_execz .LBB4_803
; %bb.728:                              ;   in Loop: Header=BB4_544 Depth=2
	v_cmp_eq_u32_e64 s16, 0, v2
	s_mov_b32 s15, 0
	s_branch .LBB4_730
.LBB4_729:                              ;   in Loop: Header=BB4_730 Depth=3
	s_wait_xcnt 0x0
	s_or_b32 exec_lo, exec_lo, s13
	v_add_nc_u32_e32 v102, v112, v102
	s_mov_b32 s16, 0
	s_and_not1_b32 exec_lo, exec_lo, s15
	s_cbranch_execz .LBB4_802
.LBB4_730:                              ;   Parent Loop BB4_73 Depth=1
                                        ;     Parent Loop BB4_544 Depth=2
                                        ; =>    This Loop Header: Depth=3
                                        ;         Child Loop BB4_736 Depth 4
                                        ;         Child Loop BB4_764 Depth 4
	;; [unrolled: 1-line block ×3, first 2 shown]
	s_delay_alu instid0(VALU_DEP_1) | instskip(SKIP_2) | instid1(VALU_DEP_2)
	v_sub_nc_u32_e32 v2, v72, v102
	v_and_b32_e32 v3, 12, v30
	s_mov_b32 s17, exec_lo
	v_min_i32_e32 v112, v112, v2
	s_delay_alu instid0(VALU_DEP_2)
	v_cmpx_ne_u32_e32 0, v3
	s_cbranch_execz .LBB4_756
; %bb.731:                              ;   in Loop: Header=BB4_730 Depth=3
	v_and_b32_e32 v48, 8, v30
	v_add_nc_u64_e32 v[2:3], 2, v[98:99]
	s_mov_b32 s29, exec_lo
	s_wait_loadcnt_dscnt 0x1
	s_delay_alu instid0(VALU_DEP_2) | instskip(NEXT) | instid1(VALU_DEP_1)
	v_add_nc_u64_e32 v[4:5], v[36:37], v[48:49]
	v_cmpx_lt_u64_e64 v[4:5], v[2:3]
	s_cbranch_execz .LBB4_743
; %bb.732:                              ;   in Loop: Header=BB4_730 Depth=3
	v_and_b32_e32 v4, 64, v30
	s_mov_b32 s40, 0
	s_mov_b32 s44, 0
                                        ; implicit-def: $sgpr41
                                        ; implicit-def: $sgpr42
                                        ; implicit-def: $sgpr43
	s_delay_alu instid0(VALU_DEP_1)
	v_cmp_eq_u32_e32 vcc_lo, 0, v4
	s_branch .LBB4_736
.LBB4_733:                              ;   in Loop: Header=BB4_736 Depth=4
	s_wait_loadcnt_dscnt 0x0
	v_add_nc_u64_e32 v[114:115], v[36:37], v[48:49]
	s_or_b32 s47, s47, exec_lo
	s_delay_alu instid0(VALU_DEP_1)
	v_cmp_ge_u64_e64 s13, v[114:115], v[2:3]
	s_or_not1_b32 s46, s13, exec_lo
.LBB4_734:                              ;   in Loop: Header=BB4_736 Depth=4
	s_or_b32 exec_lo, exec_lo, s57
	s_delay_alu instid0(SALU_CYCLE_1)
	s_and_not1_b32 s13, s43, exec_lo
	s_and_b32 s43, s47, exec_lo
	s_and_not1_b32 s42, s42, exec_lo
	s_and_b32 s46, s46, exec_lo
	s_or_b32 s43, s13, s43
	s_or_b32 s42, s42, s46
.LBB4_735:                              ;   in Loop: Header=BB4_736 Depth=4
	s_or_b32 exec_lo, exec_lo, s45
	s_delay_alu instid0(SALU_CYCLE_1) | instskip(NEXT) | instid1(SALU_CYCLE_1)
	s_and_b32 s13, exec_lo, s42
	s_or_b32 s40, s13, s40
	s_and_not1_b32 s13, s41, exec_lo
	s_and_b32 s41, s43, exec_lo
	s_delay_alu instid0(SALU_CYCLE_1)
	s_or_b32 s41, s13, s41
	s_and_not1_b32 exec_lo, exec_lo, s40
	s_cbranch_execz .LBB4_740
.LBB4_736:                              ;   Parent Loop BB4_73 Depth=1
                                        ;     Parent Loop BB4_544 Depth=2
                                        ;       Parent Loop BB4_730 Depth=3
                                        ; =>      This Inner Loop Header: Depth=4
	s_sleep 1
	s_wait_loadcnt_dscnt 0x0
	flat_load_b64 v[36:37], v[26:27] scope:SCOPE_SYS
	s_or_b32 s43, s43, exec_lo
	s_or_b32 s42, s42, exec_lo
                                        ; implicit-def: $vgpr4
	s_wait_xcnt 0x0
	s_and_saveexec_b32 s45, vcc_lo
	s_cbranch_execz .LBB4_735
; %bb.737:                              ;   in Loop: Header=BB4_736 Depth=4
	s_cmp_lt_i32 s44, 0x270f
	s_mov_b32 s46, -1
	s_cselect_b32 s56, -1, 0
	s_cmp_gt_i32 s44, 0x270e
	s_cbranch_scc0 .LBB4_739
; %bb.738:                              ;   in Loop: Header=BB4_736 Depth=4
	s_trap 2
	ds_load_b64 v[4:5], v0
	s_and_not1_b32 s44, s56, exec_lo
	s_mov_b32 s47, 0
	s_wait_storecnt 0x0
	s_wait_loadcnt_dscnt 0x0
	flat_load_b32 v4, v[4:5] scope:SCOPE_SYS
	s_wait_loadcnt_dscnt 0x0
	global_inv scope:SCOPE_SYS
	v_cmp_eq_u32_e64 s13, 0, v4
	s_and_b32 s13, s13, exec_lo
	s_delay_alu instid0(SALU_CYCLE_1)
	s_or_b32 s56, s44, s13
	s_mov_b32 s44, 0
	s_and_saveexec_b32 s57, s56
	s_cbranch_execz .LBB4_734
	s_branch .LBB4_733
.LBB4_739:                              ;   in Loop: Header=BB4_736 Depth=4
	s_add_co_i32 s44, s44, 1
	s_mov_b32 s47, -1
                                        ; implicit-def: $vgpr4
	s_and_saveexec_b32 s57, s56
	s_cbranch_execz .LBB4_734
	s_branch .LBB4_733
.LBB4_740:                              ;   in Loop: Header=BB4_730 Depth=3
	s_or_b32 exec_lo, exec_lo, s40
	s_xor_b32 s13, s41, -1
	s_delay_alu instid0(SALU_CYCLE_1) | instskip(NEXT) | instid1(SALU_CYCLE_1)
	s_and_saveexec_b32 s40, s13
	s_xor_b32 s13, exec_lo, s40
	s_cbranch_execz .LBB4_742
; %bb.741:                              ;   in Loop: Header=BB4_730 Depth=3
	v_or_b32_e32 v30, 64, v30
	s_wait_storecnt 0x0
	s_wait_loadcnt_dscnt 0x0
	ds_store_b32 v0, v4
	s_trap 2
.LBB4_742:                              ;   in Loop: Header=BB4_730 Depth=3
	s_or_b32 exec_lo, exec_lo, s13
.LBB4_743:                              ;   in Loop: Header=BB4_730 Depth=3
	s_delay_alu instid0(SALU_CYCLE_1) | instskip(SKIP_2) | instid1(VALU_DEP_1)
	s_or_b32 exec_lo, exec_lo, s29
	v_and_b32_e32 v4, 0x108, v30
	;;#ASMSTART
	s_wakeup
	;;#ASMEND
	v_cmp_ne_u32_e32 vcc_lo, 0x108, v4
                                        ; implicit-def: $vgpr4_vgpr5
	s_and_saveexec_b32 s13, vcc_lo
	s_delay_alu instid0(SALU_CYCLE_1)
	s_xor_b32 s13, exec_lo, s13
; %bb.744:                              ;   in Loop: Header=BB4_730 Depth=3
	v_dual_mov_b32 v5, v49 :: v_dual_bitop2_b32 v4, 7, v98 bitop3:0x40
                                        ; implicit-def: $vgpr98_vgpr99
; %bb.745:                              ;   in Loop: Header=BB4_730 Depth=3
	s_and_not1_saveexec_b32 s13, s13
	s_cbranch_execz .LBB4_747
; %bb.746:                              ;   in Loop: Header=BB4_730 Depth=3
	v_dual_ashrrev_i32 v113, 31, v112 :: v_dual_bitop2_b32 v4, 7, v98 bitop3:0x40
	v_mov_b32_e32 v5, v49
	s_delay_alu instid0(VALU_DEP_2)
	v_mad_nc_u64_u32 v[98:99], v4, 24, v[12:13]
	flat_store_b64 v[98:99], v[112:113] offset:8
.LBB4_747:                              ;   in Loop: Header=BB4_730 Depth=3
	s_wait_xcnt 0x0
	s_or_b32 exec_lo, exec_lo, s13
	v_and_b32_e32 v98, 0x100, v30
	s_mov_b32 s13, -1
	s_delay_alu instid0(VALU_DEP_1)
	v_cmp_ne_u32_e32 vcc_lo, 0, v98
                                        ; implicit-def: $vgpr98_vgpr99
	s_and_saveexec_b32 s29, vcc_lo
	s_cbranch_execz .LBB4_751
; %bb.748:                              ;   in Loop: Header=BB4_730 Depth=3
	v_mad_nc_u64_u32 v[114:115], v4, 24, v[12:13]
	s_delay_alu instid0(VALU_DEP_1)
	v_mad_u32 v115, v5, 24, v115
	flat_load_b32 v98, v[114:115]
	s_wait_loadcnt_dscnt 0x0
	v_cmp_eq_u32_e64 s13, 1, v98
	v_cmp_ne_u32_e32 vcc_lo, 1, v98
                                        ; implicit-def: $vgpr98_vgpr99
	s_wait_xcnt 0x0
	s_and_saveexec_b32 s40, s13
	s_cbranch_execz .LBB4_750
; %bb.749:                              ;   in Loop: Header=BB4_730 Depth=3
	flat_load_b32 v98, v[114:115] offset:4 scope:SCOPE_SYS
	s_wait_loadcnt_dscnt 0x0
	v_ashrrev_i32_e32 v99, 31, v98
.LBB4_750:                              ;   in Loop: Header=BB4_730 Depth=3
	s_wait_xcnt 0x0
	s_or_b32 exec_lo, exec_lo, s40
	s_delay_alu instid0(SALU_CYCLE_1)
	s_or_not1_b32 s13, vcc_lo, exec_lo
.LBB4_751:                              ;   in Loop: Header=BB4_730 Depth=3
	s_or_b32 exec_lo, exec_lo, s29
	s_and_saveexec_b32 s29, s13
; %bb.752:                              ;   in Loop: Header=BB4_730 Depth=3
	v_mul_u64_e32 v[98:99], v[4:5], v[28:29]
; %bb.753:                              ;   in Loop: Header=BB4_730 Depth=3
	s_or_b32 exec_lo, exec_lo, s29
	v_cmp_eq_u32_e32 vcc_lo, 0, v48
	s_delay_alu instid0(VALU_DEP_2) | instskip(SKIP_3) | instid1(VALU_DEP_1)
	v_add_nc_u64_e32 v[4:5], v[32:33], v[98:99]
	v_and_b32_e32 v103, 0x2000, v30
	s_mov_b32 s13, exec_lo
	v_cndmask_b32_e32 v48, 0xd0, v59, vcc_lo
	v_add_nc_u32_e32 v48, v0, v48
	ds_store_b64 v48, v[4:5] offset:584
	v_cmpx_ne_u32_e32 0, v103
	s_cbranch_execz .LBB4_755
; %bb.754:                              ;   in Loop: Header=BB4_730 Depth=3
	ds_load_b64 v[4:5], v0 offset:872
	s_wait_dscnt 0x0
	v_add_nc_u64_e32 v[4:5], 1, v[4:5]
	ds_store_b64 v0, v[4:5] offset:872
.LBB4_755:                              ;   in Loop: Header=BB4_730 Depth=3
	s_or_b32 exec_lo, exec_lo, s13
	v_mov_b64_e32 v[98:99], v[2:3]
.LBB4_756:                              ;   in Loop: Header=BB4_730 Depth=3
	s_or_b32 exec_lo, exec_lo, s17
	s_xor_b32 s13, s16, -1
	s_delay_alu instid0(SALU_CYCLE_1) | instskip(NEXT) | instid1(SALU_CYCLE_1)
	s_and_b32 s13, exec_lo, s13
	s_or_b32 s15, s13, s15
	s_and_saveexec_b32 s13, s1
	s_cbranch_execz .LBB4_775
; %bb.757:                              ;   in Loop: Header=BB4_730 Depth=3
	s_and_saveexec_b32 s16, s2
	s_delay_alu instid0(SALU_CYCLE_1)
	s_xor_b32 s16, exec_lo, s16
	s_cbranch_execz .LBB4_772
; %bb.758:                              ;   in Loop: Header=BB4_730 Depth=3
	s_and_saveexec_b32 s17, s5
	s_cbranch_execz .LBB4_771
; %bb.759:                              ;   in Loop: Header=BB4_730 Depth=3
	s_mov_b32 s40, exec_lo
	s_mov_b32 s29, exec_lo
	v_mbcnt_lo_u32_b32 v2, s40, 0
	global_wb scope:SCOPE_DEV
	s_wait_storecnt 0x0
	s_wait_loadcnt_dscnt 0x0
	global_inv scope:SCOPE_DEV
	v_cmpx_eq_u32_e32 0, v2
	s_cbranch_execz .LBB4_761
; %bb.760:                              ;   in Loop: Header=BB4_730 Depth=3
	s_bcnt1_i32_b32 s40, s40
	s_delay_alu instid0(SALU_CYCLE_1)
	v_mov_b32_e32 v48, s40
	s_wait_loadcnt 0x0
	ds_add_u64 v0, v[48:49]
	s_trap 2
.LBB4_761:                              ;   in Loop: Header=BB4_730 Depth=3
	s_or_b32 exec_lo, exec_lo, s29
	s_trap 2
	ds_load_b64 v[2:3], v0
	s_wait_dscnt 0x0
	v_add_nc_u64_e32 v[14:15], v[14:15], v[50:51]
	s_mov_b32 s29, exec_lo
	s_delay_alu instid0(VALU_DEP_1)
	v_cmpx_lt_u64_e64 v[2:3], v[14:15]
	s_cbranch_execz .LBB4_770
; %bb.762:                              ;   in Loop: Header=BB4_730 Depth=3
	s_mov_b32 s40, 0
	s_mov_b32 s43, 0
                                        ; implicit-def: $sgpr41
                                        ; implicit-def: $sgpr42
	s_branch .LBB4_764
.LBB4_763:                              ;   in Loop: Header=BB4_764 Depth=4
	s_or_b32 exec_lo, exec_lo, s45
	s_delay_alu instid0(SALU_CYCLE_1) | instskip(NEXT) | instid1(SALU_CYCLE_1)
	s_and_b32 s44, exec_lo, s46
	s_or_b32 s40, s44, s40
	s_and_not1_b32 s41, s41, exec_lo
	s_and_b32 s44, s42, exec_lo
	s_delay_alu instid0(SALU_CYCLE_1)
	s_or_b32 s41, s41, s44
	s_and_not1_b32 exec_lo, exec_lo, s40
	s_cbranch_execz .LBB4_768
.LBB4_764:                              ;   Parent Loop BB4_73 Depth=1
                                        ;     Parent Loop BB4_544 Depth=2
                                        ;       Parent Loop BB4_730 Depth=3
                                        ; =>      This Inner Loop Header: Depth=4
	s_add_co_i32 s43, s43, 1
	s_delay_alu instid0(SALU_CYCLE_1) | instskip(SKIP_1) | instid1(SALU_CYCLE_1)
	s_cmp_lg_u32 s43, 0x2710
	s_cselect_b32 s44, -1, 0
	s_and_b32 vcc_lo, exec_lo, s44
	s_cbranch_vccz .LBB4_766
; %bb.765:                              ;   in Loop: Header=BB4_764 Depth=4
	s_mov_b32 s46, -1
	s_or_b32 s42, s42, exec_lo
	s_and_saveexec_b32 s45, s44
	s_cbranch_execz .LBB4_763
	s_branch .LBB4_767
.LBB4_766:                              ;   in Loop: Header=BB4_764 Depth=4
	s_trap 2
	ds_load_b64 v[2:3], v0
	s_and_not1_b32 s44, s44, exec_lo
	s_mov_b32 s43, 0
	s_wait_loadcnt_dscnt 0x0
	flat_load_b32 v2, v[2:3] scope:SCOPE_SYS
	s_wait_loadcnt_dscnt 0x0
	global_inv scope:SCOPE_SYS
	v_cmp_eq_u32_e32 vcc_lo, 0, v2
	s_and_b32 s45, vcc_lo, exec_lo
	s_delay_alu instid0(SALU_CYCLE_1)
	s_or_b32 s44, s44, s45
	s_mov_b32 s46, -1
	s_or_b32 s42, s42, exec_lo
	s_and_saveexec_b32 s45, s44
	s_cbranch_execz .LBB4_763
.LBB4_767:                              ;   in Loop: Header=BB4_764 Depth=4
	s_sleep 1
	s_trap 2
	ds_load_b64 v[2:3], v0
	s_wait_dscnt 0x0
	s_and_not1_b32 s42, s42, exec_lo
	v_cmp_ge_u64_e32 vcc_lo, v[2:3], v[14:15]
	s_or_not1_b32 s46, vcc_lo, exec_lo
	s_branch .LBB4_763
.LBB4_768:                              ;   in Loop: Header=BB4_730 Depth=3
	s_or_b32 exec_lo, exec_lo, s40
	s_and_saveexec_b32 s40, s41
	s_delay_alu instid0(SALU_CYCLE_1)
	s_xor_b32 s40, exec_lo, s40
	s_cbranch_execz .LBB4_770
; %bb.769:                              ;   in Loop: Header=BB4_730 Depth=3
	ds_store_b32 v0, v58
	s_trap 2
.LBB4_770:                              ;   in Loop: Header=BB4_730 Depth=3
	s_or_b32 exec_lo, exec_lo, s29
	;;#ASMSTART
	s_wakeup
	;;#ASMEND
.LBB4_771:                              ;   in Loop: Header=BB4_730 Depth=3
	s_or_b32 exec_lo, exec_lo, s17
.LBB4_772:                              ;   in Loop: Header=BB4_730 Depth=3
	s_and_not1_saveexec_b32 s16, s16
	s_cbranch_execz .LBB4_774
; %bb.773:                              ;   in Loop: Header=BB4_730 Depth=3
	global_wb scope:SCOPE_DEV
	s_wait_storecnt 0x0
	s_wait_loadcnt_dscnt 0x0
	global_inv scope:SCOPE_DEV
	s_barrier_signal -1
	s_barrier_wait -1
.LBB4_774:                              ;   in Loop: Header=BB4_730 Depth=3
	s_or_b32 exec_lo, exec_lo, s16
.LBB4_775:                              ;   in Loop: Header=BB4_730 Depth=3
	s_delay_alu instid0(SALU_CYCLE_1) | instskip(SKIP_1) | instid1(SALU_CYCLE_1)
	s_or_b32 exec_lo, exec_lo, s13
                                        ; implicit-def: $vgpr2
	s_and_saveexec_b32 s13, s26
	s_xor_b32 s13, exec_lo, s13
	s_cbranch_execz .LBB4_787
; %bb.776:                              ;   in Loop: Header=BB4_730 Depth=3
	s_and_saveexec_b32 s16, s2
	s_delay_alu instid0(SALU_CYCLE_1)
	s_xor_b32 s16, exec_lo, s16
	s_cbranch_execz .LBB4_792
; %bb.777:                              ;   in Loop: Header=BB4_730 Depth=3
	s_and_saveexec_b32 s17, s5
	s_cbranch_execz .LBB4_791
; %bb.778:                              ;   in Loop: Header=BB4_730 Depth=3
	s_mov_b32 s40, exec_lo
	s_mov_b32 s29, exec_lo
	v_mbcnt_lo_u32_b32 v2, s40, 0
	;;#ASMSTART
	s_waitcnt lgkmcnt(0) vmcnt(0)
	;;#ASMEND
	s_delay_alu instid0(VALU_DEP_1)
	v_cmpx_eq_u32_e32 0, v2
	s_cbranch_execz .LBB4_780
; %bb.779:                              ;   in Loop: Header=BB4_730 Depth=3
	s_bcnt1_i32_b32 s40, s40
	s_delay_alu instid0(SALU_CYCLE_1)
	v_mov_b32_e32 v48, s40
	s_wait_storecnt 0x0
	s_wait_loadcnt_dscnt 0x0
	ds_add_u64 v0, v[48:49]
	s_trap 2
.LBB4_780:                              ;   in Loop: Header=BB4_730 Depth=3
	s_or_b32 exec_lo, exec_lo, s29
	s_trap 2
	ds_load_b64 v[2:3], v0
	s_wait_dscnt 0x0
	v_add_nc_u64_e32 v[14:15], v[14:15], v[50:51]
	s_mov_b32 s29, exec_lo
	s_delay_alu instid0(VALU_DEP_1)
	v_cmpx_lt_u64_e64 v[2:3], v[14:15]
	s_cbranch_execz .LBB4_790
; %bb.781:                              ;   in Loop: Header=BB4_730 Depth=3
	s_mov_b32 s40, 0
	s_mov_b32 s43, 0
                                        ; implicit-def: $sgpr41
                                        ; implicit-def: $sgpr42
	s_branch .LBB4_783
.LBB4_782:                              ;   in Loop: Header=BB4_783 Depth=4
	s_or_b32 exec_lo, exec_lo, s45
	s_delay_alu instid0(SALU_CYCLE_1) | instskip(NEXT) | instid1(SALU_CYCLE_1)
	s_and_b32 s44, exec_lo, s46
	s_or_b32 s40, s44, s40
	s_and_not1_b32 s41, s41, exec_lo
	s_and_b32 s44, s42, exec_lo
	s_delay_alu instid0(SALU_CYCLE_1)
	s_or_b32 s41, s41, s44
	s_and_not1_b32 exec_lo, exec_lo, s40
	s_cbranch_execz .LBB4_788
.LBB4_783:                              ;   Parent Loop BB4_73 Depth=1
                                        ;     Parent Loop BB4_544 Depth=2
                                        ;       Parent Loop BB4_730 Depth=3
                                        ; =>      This Inner Loop Header: Depth=4
	s_add_co_i32 s43, s43, 1
	s_delay_alu instid0(SALU_CYCLE_1) | instskip(SKIP_1) | instid1(SALU_CYCLE_1)
	s_cmp_lg_u32 s43, 0x2710
	s_cselect_b32 s44, -1, 0
	s_and_b32 vcc_lo, exec_lo, s44
	s_cbranch_vccz .LBB4_785
; %bb.784:                              ;   in Loop: Header=BB4_783 Depth=4
	s_mov_b32 s46, -1
	s_or_b32 s42, s42, exec_lo
	s_and_saveexec_b32 s45, s44
	s_cbranch_execz .LBB4_782
	s_branch .LBB4_786
.LBB4_785:                              ;   in Loop: Header=BB4_783 Depth=4
	s_trap 2
	ds_load_b64 v[2:3], v0
	s_and_not1_b32 s44, s44, exec_lo
	s_mov_b32 s43, 0
	s_wait_storecnt 0x0
	s_wait_loadcnt_dscnt 0x0
	flat_load_b32 v2, v[2:3] scope:SCOPE_SYS
	s_wait_loadcnt_dscnt 0x0
	global_inv scope:SCOPE_SYS
	v_cmp_eq_u32_e32 vcc_lo, 0, v2
	s_and_b32 s45, vcc_lo, exec_lo
	s_delay_alu instid0(SALU_CYCLE_1)
	s_or_b32 s44, s44, s45
	s_mov_b32 s46, -1
	s_or_b32 s42, s42, exec_lo
	s_and_saveexec_b32 s45, s44
	s_cbranch_execz .LBB4_782
.LBB4_786:                              ;   in Loop: Header=BB4_783 Depth=4
	s_sleep 1
	s_trap 2
	ds_load_b64 v[2:3], v0
	s_wait_dscnt 0x0
	s_and_not1_b32 s42, s42, exec_lo
	v_cmp_ge_u64_e32 vcc_lo, v[2:3], v[14:15]
	s_or_not1_b32 s46, vcc_lo, exec_lo
	s_branch .LBB4_782
.LBB4_787:                              ;   in Loop: Header=BB4_730 Depth=3
	s_and_not1_saveexec_b32 s16, s13
	s_cbranch_execnz .LBB4_795
	s_branch .LBB4_798
.LBB4_788:                              ;   in Loop: Header=BB4_730 Depth=3
	s_or_b32 exec_lo, exec_lo, s40
	s_and_saveexec_b32 s40, s41
	s_delay_alu instid0(SALU_CYCLE_1)
	s_xor_b32 s40, exec_lo, s40
	s_cbranch_execz .LBB4_790
; %bb.789:                              ;   in Loop: Header=BB4_730 Depth=3
	ds_store_b32 v0, v58
	s_trap 2
.LBB4_790:                              ;   in Loop: Header=BB4_730 Depth=3
	s_or_b32 exec_lo, exec_lo, s29
	;;#ASMSTART
	s_wakeup
	;;#ASMEND
.LBB4_791:                              ;   in Loop: Header=BB4_730 Depth=3
	s_or_b32 exec_lo, exec_lo, s17
.LBB4_792:                              ;   in Loop: Header=BB4_730 Depth=3
	s_and_not1_saveexec_b32 s16, s16
	s_cbranch_execz .LBB4_794
; %bb.793:                              ;   in Loop: Header=BB4_730 Depth=3
	;;#ASMSTART
	s_waitcnt lgkmcnt(0) vmcnt(0)
	;;#ASMEND
	s_barrier_signal -1
	s_barrier_wait -1
.LBB4_794:                              ;   in Loop: Header=BB4_730 Depth=3
	s_or_b32 exec_lo, exec_lo, s16
	v_and_b32_e32 v2, 16, v30
	s_and_not1_saveexec_b32 s16, s13
	s_cbranch_execz .LBB4_798
.LBB4_795:                              ;   in Loop: Header=BB4_730 Depth=3
	s_trap 2
	ds_load_b32 v2, v0
	v_cmp_lt_i32_e32 vcc_lo, 0, v112
	s_wait_dscnt 0x0
	v_readfirstlane_b32 s13, v2
	v_and_b32_e32 v2, 16, v30
	s_cmp_eq_u32 s13, 0
	s_delay_alu instid0(VALU_DEP_1) | instskip(SKIP_3) | instid1(SALU_CYCLE_1)
	v_cmp_ne_u32_e64 s13, 0, v2
	s_cselect_b32 s17, -1, 0
	v_and_b32_e32 v2, 16, v30
	s_and_b32 s17, vcc_lo, s17
	s_and_b32 s17, s13, s17
	s_delay_alu instid0(SALU_CYCLE_1)
	s_and_saveexec_b32 s13, s17
	s_cbranch_execz .LBB4_797
; %bb.796:                              ;   in Loop: Header=BB4_730 Depth=3
	v_mov_b32_e32 v2, 1
	global_wb scope:SCOPE_SYS
	s_wait_loadcnt 0x0
	s_wait_storecnt 0x0
	global_inv scope:SCOPE_SYS
.LBB4_797:                              ;   in Loop: Header=BB4_730 Depth=3
	s_or_b32 exec_lo, exec_lo, s13
.LBB4_798:                              ;   in Loop: Header=BB4_730 Depth=3
	s_delay_alu instid0(SALU_CYCLE_1) | instskip(NEXT) | instid1(VALU_DEP_1)
	s_or_b32 exec_lo, exec_lo, s16
	v_cmp_ne_u32_e32 vcc_lo, 0, v2
	s_xor_b32 s13, s3, -1
	s_delay_alu instid0(SALU_CYCLE_1) | instskip(NEXT) | instid1(SALU_CYCLE_1)
	s_and_b32 s16, vcc_lo, s13
	s_and_saveexec_b32 s13, s16
	s_cbranch_execz .LBB4_800
; %bb.799:                              ;   in Loop: Header=BB4_730 Depth=3
	global_wb scope:SCOPE_SYS
	s_wait_storecnt 0x0
	s_wait_loadcnt_dscnt 0x0
	flat_store_b32 v[34:35], v58 scope:SCOPE_SYS
.LBB4_800:                              ;   in Loop: Header=BB4_730 Depth=3
	s_wait_xcnt 0x0
	s_or_b32 exec_lo, exec_lo, s13
	v_and_b32_e32 v2, 48, v30
	s_mov_b32 s13, exec_lo
	s_delay_alu instid0(VALU_DEP_1)
	v_cmpx_ne_u32_e32 0, v2
	s_cbranch_execz .LBB4_729
; %bb.801:                              ;   in Loop: Header=BB4_730 Depth=3
	v_add_nc_u64_e32 v[98:99], 2, v[98:99]
	global_wb scope:SCOPE_SYS
	s_wait_storecnt 0x0
	s_wait_loadcnt_dscnt 0x0
	flat_store_b64 v[26:27], v[98:99] scope:SCOPE_SYS
	s_branch .LBB4_729
.LBB4_802:                              ;   in Loop: Header=BB4_544 Depth=2
	s_or_b32 exec_lo, exec_lo, s15
.LBB4_803:                              ;   in Loop: Header=BB4_544 Depth=2
	s_delay_alu instid0(SALU_CYCLE_1)
	s_or_b32 exec_lo, exec_lo, s14
	s_add_co_i32 s13, s28, 1
	s_cmp_eq_u32 s28, s25
	s_cbranch_scc1 .LBB4_805
; %bb.804:                              ;   in Loop: Header=BB4_544 Depth=2
	s_mov_b32 s28, s13
	s_branch .LBB4_544
.LBB4_805:                              ;   in Loop: Header=BB4_73 Depth=1
	v_dual_mov_b32 v3, 0 :: v_dual_mov_b32 v2, 0
	s_and_saveexec_b32 s13, s12
	s_cbranch_execz .LBB4_945
; %bb.806:                              ;   in Loop: Header=BB4_73 Depth=1
	flat_load_b32 v2, v[18:19] offset:4
	s_mov_b32 s16, 1
	s_mov_b32 s15, -1
	s_mov_b32 s14, 0
	s_wait_loadcnt_dscnt 0x0
	v_mad_nc_u64_u32 v[4:5], v20, v2, v[100:101]
	s_delay_alu instid0(VALU_DEP_1) | instskip(SKIP_1) | instid1(VALU_DEP_1)
	v_mad_u32 v3, v21, v2, v5
	v_ashrrev_i32_e32 v2, 31, v2
	v_mad_u32 v5, v20, v2, v3
	v_mov_b32_e32 v2, 0
	s_branch .LBB4_808
.LBB4_807:                              ;   in Loop: Header=BB4_808 Depth=2
	s_wait_xcnt 0x0
	s_or_b32 exec_lo, exec_lo, s12
	v_dual_mov_b32 v3, s16 :: v_dual_add_nc_u32 v2, v73, v2
	s_xor_b32 s12, s15, -1
	s_mov_b32 s15, 0
	s_mov_b32 s16, 2
	s_delay_alu instid0(VALU_DEP_1) | instskip(SKIP_1) | instid1(SALU_CYCLE_1)
	v_cmp_ge_i32_e32 vcc_lo, v2, v72
	s_or_b32 s12, s12, vcc_lo
	s_and_b32 s12, exec_lo, s12
	s_delay_alu instid0(SALU_CYCLE_1) | instskip(NEXT) | instid1(SALU_CYCLE_1)
	s_or_b32 s14, s12, s14
	s_and_not1_b32 exec_lo, exec_lo, s14
	s_cbranch_execz .LBB4_944
.LBB4_808:                              ;   Parent Loop BB4_73 Depth=1
                                        ; =>  This Loop Header: Depth=2
                                        ;       Child Loop BB4_816 Depth 3
                                        ;       Child Loop BB4_840 Depth 3
	;; [unrolled: 1-line block ×9, first 2 shown]
	s_wait_xcnt 0x0
	s_and_saveexec_b32 s12, s0
	s_cbranch_execz .LBB4_810
; %bb.809:                              ;   in Loop: Header=BB4_808 Depth=2
	s_trap 2
	ds_load_b128 v[100:103], v0
	s_wait_dscnt 0x0
	v_add_nc_u64_e32 v[112:113], v[102:103], v[4:5]
	v_cmp_ne_u64_e32 vcc_lo, 0, v[102:103]
	v_ashrrev_i32_e32 v3, 31, v2
	v_add_nc_u64_e32 v[100:101], v[100:101], v[4:5]
	s_delay_alu instid0(VALU_DEP_2) | instskip(NEXT) | instid1(VALU_DEP_1)
	v_add_nc_u64_e32 v[112:113], v[112:113], v[2:3]
	v_cndmask_b32_e32 v103, 0, v113, vcc_lo
	s_delay_alu instid0(VALU_DEP_3) | instskip(NEXT) | instid1(VALU_DEP_3)
	v_add_nc_u64_e32 v[100:101], v[100:101], v[2:3]
	v_cndmask_b32_e32 v102, 0, v112, vcc_lo
	ds_store_b64 v0, v[100:101]
	ds_store_b64 v0, v[102:103]
.LBB4_810:                              ;   in Loop: Header=BB4_808 Depth=2
	s_or_b32 exec_lo, exec_lo, s12
	v_and_b32_e32 v3, 4, v30
	s_mov_b32 s17, exec_lo
	s_delay_alu instid0(VALU_DEP_1)
	v_cmpx_ne_u32_e32 0, v3
	s_cbranch_execz .LBB4_832
; %bb.811:                              ;   in Loop: Header=BB4_808 Depth=2
	v_add_nc_u64_e32 v[100:101], 2, v[98:99]
	s_mov_b32 s28, exec_lo
	s_wait_loadcnt 0x0
	s_delay_alu instid0(VALU_DEP_1)
	v_cmpx_lt_u64_e64 v[36:37], v[100:101]
	s_cbranch_execz .LBB4_823
; %bb.812:                              ;   in Loop: Header=BB4_808 Depth=2
	v_and_b32_e32 v3, 64, v30
	s_mov_b32 s29, 0
	s_mov_b32 s43, 0
                                        ; implicit-def: $sgpr40
                                        ; implicit-def: $sgpr41
                                        ; implicit-def: $sgpr42
	s_delay_alu instid0(VALU_DEP_1)
	v_cmp_eq_u32_e32 vcc_lo, 0, v3
	s_branch .LBB4_816
.LBB4_813:                              ;   in Loop: Header=BB4_816 Depth=3
	s_wait_loadcnt_dscnt 0x0
	v_cmp_ge_u64_e64 s12, v[36:37], v[100:101]
	s_or_b32 s46, s46, exec_lo
	s_or_not1_b32 s45, s12, exec_lo
.LBB4_814:                              ;   in Loop: Header=BB4_816 Depth=3
	s_or_b32 exec_lo, exec_lo, s56
	s_delay_alu instid0(SALU_CYCLE_1)
	s_and_not1_b32 s12, s42, exec_lo
	s_and_b32 s42, s46, exec_lo
	s_and_not1_b32 s41, s41, exec_lo
	s_and_b32 s45, s45, exec_lo
	s_or_b32 s42, s12, s42
	s_or_b32 s41, s41, s45
.LBB4_815:                              ;   in Loop: Header=BB4_816 Depth=3
	s_or_b32 exec_lo, exec_lo, s44
	s_delay_alu instid0(SALU_CYCLE_1) | instskip(NEXT) | instid1(SALU_CYCLE_1)
	s_and_b32 s12, exec_lo, s41
	s_or_b32 s29, s12, s29
	s_and_not1_b32 s12, s40, exec_lo
	s_and_b32 s40, s42, exec_lo
	s_delay_alu instid0(SALU_CYCLE_1)
	s_or_b32 s40, s12, s40
	s_and_not1_b32 exec_lo, exec_lo, s29
	s_cbranch_execz .LBB4_820
.LBB4_816:                              ;   Parent Loop BB4_73 Depth=1
                                        ;     Parent Loop BB4_808 Depth=2
                                        ; =>    This Inner Loop Header: Depth=3
	s_sleep 1
	s_wait_loadcnt_dscnt 0x0
	flat_load_b64 v[36:37], v[26:27] scope:SCOPE_SYS
	s_or_b32 s42, s42, exec_lo
	s_or_b32 s41, s41, exec_lo
                                        ; implicit-def: $vgpr3
	s_wait_xcnt 0x0
	s_and_saveexec_b32 s44, vcc_lo
	s_cbranch_execz .LBB4_815
; %bb.817:                              ;   in Loop: Header=BB4_816 Depth=3
	s_cmp_lt_i32 s43, 0x270f
	s_mov_b32 s45, -1
	s_cselect_b32 s47, -1, 0
	s_cmp_gt_i32 s43, 0x270e
	s_cbranch_scc0 .LBB4_819
; %bb.818:                              ;   in Loop: Header=BB4_816 Depth=3
	s_trap 2
	ds_load_b64 v[102:103], v0
	s_and_not1_b32 s43, s47, exec_lo
	s_mov_b32 s46, 0
	s_wait_storecnt 0x0
	s_wait_loadcnt_dscnt 0x0
	flat_load_b32 v3, v[102:103] scope:SCOPE_SYS
	s_wait_loadcnt_dscnt 0x0
	global_inv scope:SCOPE_SYS
	v_cmp_eq_u32_e64 s12, 0, v3
	s_and_b32 s12, s12, exec_lo
	s_delay_alu instid0(SALU_CYCLE_1)
	s_or_b32 s47, s43, s12
	s_mov_b32 s43, 0
	s_and_saveexec_b32 s56, s47
	s_cbranch_execz .LBB4_814
	s_branch .LBB4_813
.LBB4_819:                              ;   in Loop: Header=BB4_816 Depth=3
	s_add_co_i32 s43, s43, 1
	s_mov_b32 s46, -1
                                        ; implicit-def: $vgpr3
	s_and_saveexec_b32 s56, s47
	s_cbranch_execz .LBB4_814
	s_branch .LBB4_813
.LBB4_820:                              ;   in Loop: Header=BB4_808 Depth=2
	s_or_b32 exec_lo, exec_lo, s29
	s_xor_b32 s12, s40, -1
	s_delay_alu instid0(SALU_CYCLE_1) | instskip(NEXT) | instid1(SALU_CYCLE_1)
	s_and_saveexec_b32 s29, s12
	s_xor_b32 s12, exec_lo, s29
	s_cbranch_execz .LBB4_822
; %bb.821:                              ;   in Loop: Header=BB4_808 Depth=2
	v_or_b32_e32 v30, 64, v30
	s_wait_storecnt 0x0
	s_wait_loadcnt_dscnt 0x0
	ds_store_b32 v0, v3
	s_trap 2
.LBB4_822:                              ;   in Loop: Header=BB4_808 Depth=2
	s_or_b32 exec_lo, exec_lo, s12
.LBB4_823:                              ;   in Loop: Header=BB4_808 Depth=2
	s_delay_alu instid0(SALU_CYCLE_1)
	s_or_b32 exec_lo, exec_lo, s28
	v_and_b32_e32 v3, 0x100, v30
	v_and_b32_e32 v48, 7, v98
	s_mov_b32 s12, -1
	s_mov_b32 s28, exec_lo
	;;#ASMSTART
	s_wakeup
	;;#ASMEND
                                        ; implicit-def: $vgpr98_vgpr99
	v_cmpx_ne_u32_e32 0, v3
	s_cbranch_execz .LBB4_827
; %bb.824:                              ;   in Loop: Header=BB4_808 Depth=2
	v_mad_nc_u64_u32 v[102:103], v48, 24, v[12:13]
	s_mov_b32 s29, exec_lo
                                        ; implicit-def: $vgpr98_vgpr99
	flat_load_b32 v3, v[102:103]
	s_wait_loadcnt_dscnt 0x0
	v_cmp_ne_u32_e32 vcc_lo, 1, v3
	s_wait_xcnt 0x0
	v_cmpx_eq_u32_e32 1, v3
	s_cbranch_execz .LBB4_826
; %bb.825:                              ;   in Loop: Header=BB4_808 Depth=2
	flat_load_b32 v98, v[102:103] offset:4 scope:SCOPE_SYS
	s_wait_loadcnt_dscnt 0x0
	v_ashrrev_i32_e32 v99, 31, v98
.LBB4_826:                              ;   in Loop: Header=BB4_808 Depth=2
	s_wait_xcnt 0x0
	s_or_b32 exec_lo, exec_lo, s29
	s_delay_alu instid0(SALU_CYCLE_1)
	s_or_not1_b32 s12, vcc_lo, exec_lo
.LBB4_827:                              ;   in Loop: Header=BB4_808 Depth=2
	s_or_b32 exec_lo, exec_lo, s28
	s_and_saveexec_b32 s28, s12
; %bb.828:                              ;   in Loop: Header=BB4_808 Depth=2
	v_mul_u64_e32 v[98:99], v[48:49], v[28:29]
; %bb.829:                              ;   in Loop: Header=BB4_808 Depth=2
	s_or_b32 exec_lo, exec_lo, s28
	s_delay_alu instid0(VALU_DEP_1)
	v_add_nc_u64_e32 v[98:99], v[32:33], v[98:99]
	v_and_b32_e32 v3, 0x2000, v30
	s_mov_b32 s12, exec_lo
	ds_store_b64 v0, v[98:99] offset:720
	v_cmpx_ne_u32_e32 0, v3
	s_cbranch_execz .LBB4_831
; %bb.830:                              ;   in Loop: Header=BB4_808 Depth=2
	ds_load_b64 v[98:99], v0 offset:872
	s_wait_dscnt 0x0
	v_add_nc_u64_e32 v[98:99], 1, v[98:99]
	ds_store_b64 v0, v[98:99] offset:872
.LBB4_831:                              ;   in Loop: Header=BB4_808 Depth=2
	s_or_b32 exec_lo, exec_lo, s12
	v_mov_b64_e32 v[98:99], v[100:101]
.LBB4_832:                              ;   in Loop: Header=BB4_808 Depth=2
	s_or_b32 exec_lo, exec_lo, s17
	s_and_saveexec_b32 s12, s1
	s_cbranch_execz .LBB4_851
; %bb.833:                              ;   in Loop: Header=BB4_808 Depth=2
	s_and_saveexec_b32 s17, s2
	s_delay_alu instid0(SALU_CYCLE_1)
	s_xor_b32 s17, exec_lo, s17
	s_cbranch_execz .LBB4_848
; %bb.834:                              ;   in Loop: Header=BB4_808 Depth=2
	s_and_saveexec_b32 s28, s5
	s_cbranch_execz .LBB4_847
; %bb.835:                              ;   in Loop: Header=BB4_808 Depth=2
	s_mov_b32 s40, exec_lo
	s_mov_b32 s29, exec_lo
	v_mbcnt_lo_u32_b32 v3, s40, 0
	global_wb scope:SCOPE_DEV
	s_wait_storecnt 0x0
	s_wait_loadcnt_dscnt 0x0
	global_inv scope:SCOPE_DEV
	v_cmpx_eq_u32_e32 0, v3
	s_cbranch_execz .LBB4_837
; %bb.836:                              ;   in Loop: Header=BB4_808 Depth=2
	s_bcnt1_i32_b32 s40, s40
	s_delay_alu instid0(SALU_CYCLE_1)
	v_mov_b32_e32 v48, s40
	s_wait_loadcnt 0x0
	ds_add_u64 v0, v[48:49]
	s_trap 2
.LBB4_837:                              ;   in Loop: Header=BB4_808 Depth=2
	s_or_b32 exec_lo, exec_lo, s29
	s_trap 2
	ds_load_b64 v[100:101], v0
	s_wait_dscnt 0x0
	v_add_nc_u64_e32 v[14:15], v[14:15], v[50:51]
	s_mov_b32 s29, exec_lo
	s_delay_alu instid0(VALU_DEP_1)
	v_cmpx_lt_u64_e64 v[100:101], v[14:15]
	s_cbranch_execz .LBB4_846
; %bb.838:                              ;   in Loop: Header=BB4_808 Depth=2
	s_mov_b32 s40, 0
	s_mov_b32 s43, 0
                                        ; implicit-def: $sgpr41
                                        ; implicit-def: $sgpr42
	s_branch .LBB4_840
.LBB4_839:                              ;   in Loop: Header=BB4_840 Depth=3
	s_or_b32 exec_lo, exec_lo, s45
	s_delay_alu instid0(SALU_CYCLE_1) | instskip(NEXT) | instid1(SALU_CYCLE_1)
	s_and_b32 s44, exec_lo, s46
	s_or_b32 s40, s44, s40
	s_and_not1_b32 s41, s41, exec_lo
	s_and_b32 s44, s42, exec_lo
	s_delay_alu instid0(SALU_CYCLE_1)
	s_or_b32 s41, s41, s44
	s_and_not1_b32 exec_lo, exec_lo, s40
	s_cbranch_execz .LBB4_844
.LBB4_840:                              ;   Parent Loop BB4_73 Depth=1
                                        ;     Parent Loop BB4_808 Depth=2
                                        ; =>    This Inner Loop Header: Depth=3
	s_add_co_i32 s43, s43, 1
	s_delay_alu instid0(SALU_CYCLE_1) | instskip(SKIP_1) | instid1(SALU_CYCLE_1)
	s_cmp_lg_u32 s43, 0x2710
	s_cselect_b32 s44, -1, 0
	s_and_b32 vcc_lo, exec_lo, s44
	s_cbranch_vccz .LBB4_842
; %bb.841:                              ;   in Loop: Header=BB4_840 Depth=3
	s_mov_b32 s46, -1
	s_or_b32 s42, s42, exec_lo
	s_and_saveexec_b32 s45, s44
	s_cbranch_execz .LBB4_839
	s_branch .LBB4_843
.LBB4_842:                              ;   in Loop: Header=BB4_840 Depth=3
	s_trap 2
	ds_load_b64 v[100:101], v0
	s_and_not1_b32 s44, s44, exec_lo
	s_mov_b32 s43, 0
	s_wait_loadcnt_dscnt 0x0
	flat_load_b32 v3, v[100:101] scope:SCOPE_SYS
	s_wait_loadcnt_dscnt 0x0
	global_inv scope:SCOPE_SYS
	v_cmp_eq_u32_e32 vcc_lo, 0, v3
	s_and_b32 s45, vcc_lo, exec_lo
	s_delay_alu instid0(SALU_CYCLE_1)
	s_or_b32 s44, s44, s45
	s_mov_b32 s46, -1
	s_or_b32 s42, s42, exec_lo
	s_and_saveexec_b32 s45, s44
	s_cbranch_execz .LBB4_839
.LBB4_843:                              ;   in Loop: Header=BB4_840 Depth=3
	s_sleep 1
	s_trap 2
	ds_load_b64 v[100:101], v0
	s_wait_dscnt 0x0
	s_and_not1_b32 s42, s42, exec_lo
	v_cmp_ge_u64_e32 vcc_lo, v[100:101], v[14:15]
	s_or_not1_b32 s46, vcc_lo, exec_lo
	s_branch .LBB4_839
.LBB4_844:                              ;   in Loop: Header=BB4_808 Depth=2
	s_or_b32 exec_lo, exec_lo, s40
	s_and_saveexec_b32 s40, s41
	s_delay_alu instid0(SALU_CYCLE_1)
	s_xor_b32 s40, exec_lo, s40
	s_cbranch_execz .LBB4_846
; %bb.845:                              ;   in Loop: Header=BB4_808 Depth=2
	ds_store_b32 v0, v58
	s_trap 2
.LBB4_846:                              ;   in Loop: Header=BB4_808 Depth=2
	s_or_b32 exec_lo, exec_lo, s29
	;;#ASMSTART
	s_wakeup
	;;#ASMEND
.LBB4_847:                              ;   in Loop: Header=BB4_808 Depth=2
	s_or_b32 exec_lo, exec_lo, s28
.LBB4_848:                              ;   in Loop: Header=BB4_808 Depth=2
	s_and_not1_saveexec_b32 s17, s17
	s_cbranch_execz .LBB4_850
; %bb.849:                              ;   in Loop: Header=BB4_808 Depth=2
	global_wb scope:SCOPE_DEV
	s_wait_storecnt 0x0
	s_wait_loadcnt_dscnt 0x0
	global_inv scope:SCOPE_DEV
	s_barrier_signal -1
	s_barrier_wait -1
.LBB4_850:                              ;   in Loop: Header=BB4_808 Depth=2
	s_or_b32 exec_lo, exec_lo, s17
.LBB4_851:                              ;   in Loop: Header=BB4_808 Depth=2
	s_delay_alu instid0(SALU_CYCLE_1) | instskip(SKIP_3) | instid1(VALU_DEP_1)
	s_or_b32 exec_lo, exec_lo, s12
	s_trap 2
	ds_load_b32 v3, v0
	v_and_b32_e32 v48, 0x4000, v30
	v_cmp_ne_u32_e32 vcc_lo, 0, v48
	s_and_b32 s17, s27, vcc_lo
	s_delay_alu instid0(SALU_CYCLE_1)
	s_and_saveexec_b32 s12, s17
	s_cbranch_execz .LBB4_870
; %bb.852:                              ;   in Loop: Header=BB4_808 Depth=2
	s_and_saveexec_b32 s17, s2
	s_delay_alu instid0(SALU_CYCLE_1)
	s_xor_b32 s17, exec_lo, s17
	s_cbranch_execz .LBB4_867
; %bb.853:                              ;   in Loop: Header=BB4_808 Depth=2
	s_and_saveexec_b32 s28, s5
	s_cbranch_execz .LBB4_866
; %bb.854:                              ;   in Loop: Header=BB4_808 Depth=2
	s_mov_b32 s40, exec_lo
	s_mov_b32 s29, exec_lo
	v_mbcnt_lo_u32_b32 v48, s40, 0
	global_wb scope:SCOPE_DEV
	s_wait_storecnt 0x0
	s_wait_loadcnt_dscnt 0x0
	global_inv scope:SCOPE_DEV
	v_cmpx_eq_u32_e32 0, v48
	s_cbranch_execz .LBB4_856
; %bb.855:                              ;   in Loop: Header=BB4_808 Depth=2
	s_bcnt1_i32_b32 s40, s40
	s_delay_alu instid0(SALU_CYCLE_1)
	v_mov_b32_e32 v48, s40
	s_wait_loadcnt 0x0
	ds_add_u64 v0, v[48:49]
	s_trap 2
.LBB4_856:                              ;   in Loop: Header=BB4_808 Depth=2
	s_or_b32 exec_lo, exec_lo, s29
	s_trap 2
	ds_load_b64 v[100:101], v0
	s_wait_dscnt 0x0
	v_add_nc_u64_e32 v[14:15], v[14:15], v[50:51]
	s_mov_b32 s29, exec_lo
	s_delay_alu instid0(VALU_DEP_1)
	v_cmpx_lt_u64_e64 v[100:101], v[14:15]
	s_cbranch_execz .LBB4_865
; %bb.857:                              ;   in Loop: Header=BB4_808 Depth=2
	s_mov_b32 s40, 0
	s_mov_b32 s43, 0
                                        ; implicit-def: $sgpr41
                                        ; implicit-def: $sgpr42
	s_branch .LBB4_859
.LBB4_858:                              ;   in Loop: Header=BB4_859 Depth=3
	s_or_b32 exec_lo, exec_lo, s45
	s_delay_alu instid0(SALU_CYCLE_1) | instskip(NEXT) | instid1(SALU_CYCLE_1)
	s_and_b32 s44, exec_lo, s46
	s_or_b32 s40, s44, s40
	s_and_not1_b32 s41, s41, exec_lo
	s_and_b32 s44, s42, exec_lo
	s_delay_alu instid0(SALU_CYCLE_1)
	s_or_b32 s41, s41, s44
	s_and_not1_b32 exec_lo, exec_lo, s40
	s_cbranch_execz .LBB4_863
.LBB4_859:                              ;   Parent Loop BB4_73 Depth=1
                                        ;     Parent Loop BB4_808 Depth=2
                                        ; =>    This Inner Loop Header: Depth=3
	s_add_co_i32 s43, s43, 1
	s_delay_alu instid0(SALU_CYCLE_1) | instskip(SKIP_1) | instid1(SALU_CYCLE_1)
	s_cmp_lg_u32 s43, 0x2710
	s_cselect_b32 s44, -1, 0
	s_and_b32 vcc_lo, exec_lo, s44
	s_cbranch_vccz .LBB4_861
; %bb.860:                              ;   in Loop: Header=BB4_859 Depth=3
	s_mov_b32 s46, -1
	s_or_b32 s42, s42, exec_lo
	s_and_saveexec_b32 s45, s44
	s_cbranch_execz .LBB4_858
	s_branch .LBB4_862
.LBB4_861:                              ;   in Loop: Header=BB4_859 Depth=3
	s_trap 2
	ds_load_b64 v[100:101], v0
	s_and_not1_b32 s44, s44, exec_lo
	s_mov_b32 s43, 0
	s_wait_loadcnt_dscnt 0x0
	flat_load_b32 v48, v[100:101] scope:SCOPE_SYS
	s_wait_loadcnt_dscnt 0x0
	global_inv scope:SCOPE_SYS
	v_cmp_eq_u32_e32 vcc_lo, 0, v48
	s_and_b32 s45, vcc_lo, exec_lo
	s_delay_alu instid0(SALU_CYCLE_1)
	s_or_b32 s44, s44, s45
	s_mov_b32 s46, -1
	s_or_b32 s42, s42, exec_lo
	s_and_saveexec_b32 s45, s44
	s_cbranch_execz .LBB4_858
.LBB4_862:                              ;   in Loop: Header=BB4_859 Depth=3
	s_sleep 1
	s_trap 2
	ds_load_b64 v[100:101], v0
	s_wait_dscnt 0x0
	s_and_not1_b32 s42, s42, exec_lo
	v_cmp_ge_u64_e32 vcc_lo, v[100:101], v[14:15]
	s_or_not1_b32 s46, vcc_lo, exec_lo
	s_branch .LBB4_858
.LBB4_863:                              ;   in Loop: Header=BB4_808 Depth=2
	s_or_b32 exec_lo, exec_lo, s40
	s_and_saveexec_b32 s40, s41
	s_delay_alu instid0(SALU_CYCLE_1)
	s_xor_b32 s40, exec_lo, s40
	s_cbranch_execz .LBB4_865
; %bb.864:                              ;   in Loop: Header=BB4_808 Depth=2
	ds_store_b32 v0, v58
	s_trap 2
.LBB4_865:                              ;   in Loop: Header=BB4_808 Depth=2
	s_or_b32 exec_lo, exec_lo, s29
	;;#ASMSTART
	s_wakeup
	;;#ASMEND
.LBB4_866:                              ;   in Loop: Header=BB4_808 Depth=2
	s_or_b32 exec_lo, exec_lo, s28
.LBB4_867:                              ;   in Loop: Header=BB4_808 Depth=2
	s_and_not1_saveexec_b32 s17, s17
	s_cbranch_execz .LBB4_869
; %bb.868:                              ;   in Loop: Header=BB4_808 Depth=2
	global_wb scope:SCOPE_DEV
	s_wait_storecnt 0x0
	s_wait_loadcnt_dscnt 0x0
	global_inv scope:SCOPE_DEV
	s_barrier_signal -1
	s_barrier_wait -1
.LBB4_869:                              ;   in Loop: Header=BB4_808 Depth=2
	s_or_b32 exec_lo, exec_lo, s17
.LBB4_870:                              ;   in Loop: Header=BB4_808 Depth=2
	s_delay_alu instid0(SALU_CYCLE_1) | instskip(SKIP_3) | instid1(VALU_DEP_1)
	s_or_b32 exec_lo, exec_lo, s12
	s_trap 2
	ds_load_b64 v[100:101], v0
	v_sub_nc_u32_e32 v48, v72, v2
	v_min_i32_e32 v73, v73, v48
	s_wait_dscnt 0x0
	v_cmp_eq_u64_e32 vcc_lo, 0, v[100:101]
	s_cbranch_vccnz .LBB4_878
; %bb.871:                              ;   in Loop: Header=BB4_808 Depth=2
	s_trap 2
	ds_load_b64 v[102:103], v0
	s_wait_dscnt 0x0
	v_cmp_eq_u64_e32 vcc_lo, 0, v[102:103]
	s_cbranch_vccnz .LBB4_878
; %bb.872:                              ;   in Loop: Header=BB4_808 Depth=2
	s_mov_b32 s12, -1
	s_and_saveexec_b32 s17, s11
	s_cbranch_execz .LBB4_874
; %bb.873:                              ;   in Loop: Header=BB4_808 Depth=2
	ds_load_b32 v48, v0 offset:720
	s_wait_dscnt 0x0
	v_and_b32_e32 v48, 15, v48
	s_delay_alu instid0(VALU_DEP_1)
	v_cmp_eq_u32_e32 vcc_lo, 0, v48
	s_or_not1_b32 s12, vcc_lo, exec_lo
.LBB4_874:                              ;   in Loop: Header=BB4_808 Depth=2
	s_or_b32 exec_lo, exec_lo, s17
	s_and_saveexec_b32 s17, s6
	s_cbranch_execz .LBB4_876
; %bb.875:                              ;   in Loop: Header=BB4_808 Depth=2
	ds_load_b32 v48, v0 offset:784
	s_wait_dscnt 0x0
	v_and_b32_e32 v48, 15, v48
	s_delay_alu instid0(VALU_DEP_1) | instskip(SKIP_3) | instid1(SALU_CYCLE_1)
	v_cmp_eq_u32_e32 vcc_lo, 0, v48
	s_and_b32 s28, s12, vcc_lo
	s_and_not1_b32 s12, s12, exec_lo
	s_and_b32 s28, s28, exec_lo
	s_or_b32 s12, s12, s28
.LBB4_876:                              ;   in Loop: Header=BB4_808 Depth=2
	s_or_b32 exec_lo, exec_lo, s17
	v_cmp_eq_u32_e32 vcc_lo, 0, v3
	s_xor_b32 s12, s12, -1
	v_mov_b32_e32 v112, v61
	v_cndmask_b32_e64 v48, 0, 1, s12
	s_mov_b32 s28, -1
	v_dual_cndmask_b32 v3, 0, v73, vcc_lo :: v_dual_mov_b32 v115, v0
	s_delay_alu instid0(VALU_DEP_2) | instskip(NEXT) | instid1(VALU_DEP_2)
	v_cmp_ne_u32_e32 vcc_lo, 0, v48
	v_dual_mov_b32 v48, 0 :: v_dual_mov_b32 v114, v3
	s_cbranch_vccz .LBB4_883
; %bb.877:                              ;   in Loop: Header=BB4_808 Depth=2
	s_and_saveexec_b32 s12, s28
	s_cbranch_execnz .LBB4_896
	s_branch .LBB4_904
.LBB4_878:                              ;   in Loop: Header=BB4_808 Depth=2
	s_mov_b32 s12, 0
	s_and_saveexec_b32 s17, s1
	s_cbranch_execnz .LBB4_905
.LBB4_879:                              ;   in Loop: Header=BB4_808 Depth=2
	s_or_b32 exec_lo, exec_lo, s17
	s_and_saveexec_b32 s17, s7
	s_delay_alu instid0(SALU_CYCLE_1)
	s_xor_b32 s17, exec_lo, s17
	s_cbranch_execz .LBB4_923
.LBB4_880:                              ;   in Loop: Header=BB4_808 Depth=2
	v_and_b32_e32 v3, 16, v30
	s_delay_alu instid0(VALU_DEP_1) | instskip(SKIP_1) | instid1(SALU_CYCLE_1)
	v_cmp_ne_u32_e32 vcc_lo, 0, v3
	s_and_b32 s28, vcc_lo, s12
	s_and_saveexec_b32 s12, s28
	s_cbranch_execz .LBB4_882
; %bb.881:                              ;   in Loop: Header=BB4_808 Depth=2
	global_wb scope:SCOPE_SYS
	s_wait_storecnt 0x0
	s_wait_loadcnt_dscnt 0x0
	global_inv scope:SCOPE_SYS
.LBB4_882:                              ;   in Loop: Header=BB4_808 Depth=2
	s_or_b32 exec_lo, exec_lo, s12
	s_and_not1_saveexec_b32 s12, s17
	s_cbranch_execz .LBB4_942
	s_branch .LBB4_924
.LBB4_883:                              ;   in Loop: Header=BB4_808 Depth=2
	v_ashrrev_i32_e32 v48, 31, v3
	s_mov_b32 s12, exec_lo
	s_delay_alu instid0(VALU_DEP_1) | instskip(NEXT) | instid1(VALU_DEP_1)
	v_lshrrev_b32_e32 v48, 22, v48
	v_add_nc_u32_e32 v48, v3, v48
	s_delay_alu instid0(VALU_DEP_1) | instskip(NEXT) | instid1(VALU_DEP_1)
	v_ashrrev_i32_e32 v48, 10, v48
	v_sub_nc_u32_e32 v117, v48, v61
	s_delay_alu instid0(VALU_DEP_1)
	v_cmpx_lt_i32_e32 0, v117
	s_cbranch_execz .LBB4_887
; %bb.884:                              ;   in Loop: Header=BB4_808 Depth=2
	v_mov_b64_e32 v[112:113], v[96:97]
	s_mov_b32 s17, 0
.LBB4_885:                              ;   Parent Loop BB4_73 Depth=1
                                        ;     Parent Loop BB4_808 Depth=2
                                        ; =>    This Inner Loop Header: Depth=3
	s_delay_alu instid0(VALU_DEP_1)
	v_add_nc_u64_e32 v[114:115], v[100:101], v[112:113]
	v_sub_nc_u32_e32 v117, v117, v50
	s_clause 0x1
	global_load_b128 v[40:43], v[114:115], off th:TH_LOAD_NT
	global_load_b128 v[44:47], v[114:115], off offset:512 th:TH_LOAD_NT
	s_wait_xcnt 0x0
	v_add_nc_u64_e32 v[114:115], v[102:103], v[112:113]
	v_cmp_gt_i32_e32 vcc_lo, 1, v117
	v_add_nc_u64_e32 v[112:113], v[112:113], v[80:81]
	s_wait_loadcnt 0x1
	global_store_b128 v[114:115], v[40:43], off th:TH_STORE_NT
	s_wait_loadcnt 0x0
	global_store_b128 v[114:115], v[44:47], off offset:512 th:TH_STORE_NT
	s_or_b32 s17, vcc_lo, s17
	s_wait_xcnt 0x0
	s_and_not1_b32 exec_lo, exec_lo, s17
	s_cbranch_execnz .LBB4_885
; %bb.886:                              ;   in Loop: Header=BB4_808 Depth=2
	s_or_b32 exec_lo, exec_lo, s17
.LBB4_887:                              ;   in Loop: Header=BB4_808 Depth=2
	s_delay_alu instid0(SALU_CYCLE_1) | instskip(SKIP_3) | instid1(VALU_DEP_1)
	s_or_b32 exec_lo, exec_lo, s12
	v_dual_lshlrev_b32 v116, 10, v48 :: v_dual_mov_b32 v48, 0
	s_mov_b32 s28, 0
	s_mov_b32 s17, exec_lo
                                        ; implicit-def: $vgpr114
                                        ; implicit-def: $vgpr115
                                        ; implicit-def: $vgpr112
	v_cmpx_ne_u32_e64 v3, v116
	s_cbranch_execz .LBB4_895
; %bb.888:                              ;   in Loop: Header=BB4_808 Depth=2
	v_dual_lshlrev_b32 v48, 5, v117 :: v_dual_sub_nc_u32 v113, v3, v116
	s_mov_b32 s28, exec_lo
	s_delay_alu instid0(VALU_DEP_1) | instskip(NEXT) | instid1(VALU_DEP_1)
	v_dual_sub_nc_u32 v48, v62, v48 :: v_dual_ashrrev_i32 v114, 31, v113
	v_dual_ashrrev_i32 v112, 31, v48 :: v_dual_lshrrev_b32 v114, 23, v114
	s_delay_alu instid0(VALU_DEP_1) | instskip(NEXT) | instid1(VALU_DEP_1)
	v_dual_lshrrev_b32 v112, 27, v112 :: v_dual_add_nc_u32 v114, v113, v114
	v_add_nc_u32_e32 v112, v48, v112
	s_delay_alu instid0(VALU_DEP_2) | instskip(SKIP_1) | instid1(VALU_DEP_3)
	v_and_b32_e32 v117, 0xfffffe00, v114
	v_ashrrev_i32_e32 v114, 9, v114
	v_and_b32_e32 v115, 0xffffffe0, v112
	s_delay_alu instid0(VALU_DEP_1) | instskip(SKIP_1) | instid1(VALU_DEP_2)
	v_dual_sub_nc_u32 v119, v113, v117 :: v_dual_sub_nc_u32 v118, v48, v115
	v_ashrrev_i32_e32 v115, 5, v112
	v_cmp_lt_i32_e32 vcc_lo, 15, v119
	s_delay_alu instid0(VALU_DEP_3) | instskip(SKIP_1) | instid1(VALU_DEP_2)
	v_lshlrev_b32_e32 v48, 4, v118
	v_add_co_ci_u32_e64 v114, null, 0, v114, vcc_lo
	v_lshl_add_u32 v112, v115, 9, v48
	s_delay_alu instid0(VALU_DEP_1) | instskip(NEXT) | instid1(VALU_DEP_1)
	v_dual_sub_nc_u32 v40, v114, v115 :: v_dual_sub_nc_u32 v48, v113, v112
	v_cmpx_lt_i32_e32 15, v48
	s_cbranch_execz .LBB4_892
; %bb.889:                              ;   in Loop: Header=BB4_808 Depth=2
	v_add_nc_u32_e32 v112, v112, v116
	s_mov_b32 s29, 0
	s_delay_alu instid0(VALU_DEP_1)
	v_ashrrev_i32_e32 v113, 31, v112
.LBB4_890:                              ;   Parent Loop BB4_73 Depth=1
                                        ;     Parent Loop BB4_808 Depth=2
                                        ; =>    This Inner Loop Header: Depth=3
	s_delay_alu instid0(VALU_DEP_1) | instskip(SKIP_2) | instid1(VALU_DEP_2)
	v_add_nc_u64_e32 v[114:115], v[100:101], v[112:113]
	v_sub_nc_u32_e32 v48, v48, v60
	v_sub_nc_u32_e32 v40, v40, v50
	v_cmp_gt_i32_e64 s12, 16, v48
	global_load_b128 v[42:45], v[114:115], off th:TH_LOAD_NT
	s_wait_xcnt 0x0
	v_add_nc_u64_e32 v[114:115], v[102:103], v[112:113]
	v_add_nc_u64_e32 v[112:113], v[112:113], v[86:87]
	s_or_b32 s29, s12, s29
	s_wait_loadcnt 0x0
	global_store_b128 v[114:115], v[42:45], off th:TH_STORE_NT
	s_wait_xcnt 0x0
	s_and_not1_b32 exec_lo, exec_lo, s29
	s_cbranch_execnz .LBB4_890
; %bb.891:                              ;   in Loop: Header=BB4_808 Depth=2
	s_or_b32 exec_lo, exec_lo, s29
.LBB4_892:                              ;   in Loop: Header=BB4_808 Depth=2
	s_delay_alu instid0(SALU_CYCLE_1) | instskip(SKIP_3) | instid1(VALU_DEP_1)
	s_or_b32 exec_lo, exec_lo, s28
	v_dual_mov_b32 v48, 0 :: v_dual_bitop2_b32 v113, 15, v3 bitop3:0x40
	s_mov_b32 s28, 0
	s_mov_b32 s29, exec_lo
                                        ; implicit-def: $vgpr115
                                        ; implicit-def: $vgpr112
	v_cndmask_b32_e32 v114, v119, v113, vcc_lo
	s_delay_alu instid0(VALU_DEP_1)
	v_cmpx_ne_u32_e32 0, v114
	s_cbranch_execz .LBB4_894
; %bb.893:                              ;   in Loop: Header=BB4_808 Depth=2
	v_cmp_lt_i32_e64 s12, 0, v40
	s_mov_b32 s28, exec_lo
	v_dual_sub_nc_u32 v112, v119, v113 :: v_dual_cndmask_b32 v48, 0, v50, s12
	s_delay_alu instid0(VALU_DEP_1) | instskip(NEXT) | instid1(VALU_DEP_2)
	v_cndmask_b32_e32 v112, 0, v112, vcc_lo
	v_sub_nc_u32_e32 v48, v48, v40
	s_delay_alu instid0(VALU_DEP_1) | instskip(NEXT) | instid1(VALU_DEP_1)
	v_lshl_add_u32 v115, v48, 5, v118
	v_ashrrev_i32_e32 v48, 31, v115
	s_delay_alu instid0(VALU_DEP_1) | instskip(NEXT) | instid1(VALU_DEP_1)
	v_lshrrev_b32_e32 v48, 27, v48
	v_add_nc_u32_e32 v113, v115, v48
	v_add3_u32 v48, v117, v116, v112
	s_delay_alu instid0(VALU_DEP_2)
	v_ashrrev_i32_e32 v112, 5, v113
.LBB4_894:                              ;   in Loop: Header=BB4_808 Depth=2
	s_or_b32 exec_lo, exec_lo, s29
	s_delay_alu instid0(SALU_CYCLE_1)
	s_and_b32 s28, s28, exec_lo
.LBB4_895:                              ;   in Loop: Header=BB4_808 Depth=2
	s_or_b32 exec_lo, exec_lo, s17
	s_and_saveexec_b32 s12, s28
	s_cbranch_execz .LBB4_904
.LBB4_896:                              ;   in Loop: Header=BB4_808 Depth=2
	v_ashrrev_i32_e32 v113, 31, v114
	s_mov_b32 s17, exec_lo
	s_delay_alu instid0(VALU_DEP_1) | instskip(NEXT) | instid1(VALU_DEP_1)
	v_lshrrev_b32_e32 v113, 24, v113
	v_add_nc_u32_e32 v113, v114, v113
	s_delay_alu instid0(VALU_DEP_1) | instskip(NEXT) | instid1(VALU_DEP_1)
	v_dual_ashrrev_i32 v118, 8, v113 :: v_dual_ashrrev_i32 v113, 31, v115
	v_dual_sub_nc_u32 v116, v118, v112 :: v_dual_lshrrev_b32 v117, 27, v113
	s_delay_alu instid0(VALU_DEP_1)
	v_cmpx_lt_i32_e32 0, v116
	s_cbranch_execz .LBB4_900
; %bb.897:                              ;   in Loop: Header=BB4_808 Depth=2
	s_delay_alu instid0(VALU_DEP_2) | instskip(SKIP_1) | instid1(VALU_DEP_1)
	v_dual_add_nc_u32 v113, v115, v117 :: v_dual_lshlrev_b32 v112, 8, v112
	s_mov_b32 s28, 0
	v_and_b32_e32 v113, 0xffffffe0, v113
	s_delay_alu instid0(VALU_DEP_1) | instskip(NEXT) | instid1(VALU_DEP_1)
	v_sub_nc_u32_e32 v113, v115, v113
	v_add3_u32 v112, v48, v113, v112
	s_delay_alu instid0(VALU_DEP_1)
	v_ashrrev_i32_e32 v113, 31, v112
.LBB4_898:                              ;   Parent Loop BB4_73 Depth=1
                                        ;     Parent Loop BB4_808 Depth=2
                                        ; =>    This Inner Loop Header: Depth=3
	s_delay_alu instid0(VALU_DEP_1)
	v_add_nc_u64_e32 v[40:41], v[112:113], v[100:101]
	v_sub_nc_u32_e32 v116, v116, v50
	v_add_nc_u64_e32 v[100:101], v[100:101], v[68:69]
	s_clause 0x7
	flat_load_u8 v119, v[40:41] th:TH_LOAD_NT
	flat_load_u8 v42, v[40:41] offset:32 th:TH_LOAD_NT
	flat_load_u8 v43, v[40:41] offset:64 th:TH_LOAD_NT
	;; [unrolled: 1-line block ×7, first 2 shown]
	s_wait_xcnt 0x0
	v_add_nc_u64_e32 v[40:41], v[112:113], v[102:103]
	v_add_nc_u64_e32 v[102:103], v[102:103], v[68:69]
	v_cmp_gt_i32_e32 vcc_lo, 1, v116
	s_wait_loadcnt_dscnt 0x707
	flat_store_b8 v[40:41], v119 th:TH_STORE_NT
	s_wait_loadcnt_dscnt 0x607
	flat_store_b8 v[40:41], v42 offset:32 th:TH_STORE_NT
	s_wait_loadcnt_dscnt 0x507
	flat_store_b8 v[40:41], v43 offset:64 th:TH_STORE_NT
	;; [unrolled: 2-line block ×7, first 2 shown]
	s_or_b32 s28, vcc_lo, s28
	s_wait_xcnt 0x0
	s_and_not1_b32 exec_lo, exec_lo, s28
	s_cbranch_execnz .LBB4_898
; %bb.899:                              ;   in Loop: Header=BB4_808 Depth=2
	s_or_b32 exec_lo, exec_lo, s28
.LBB4_900:                              ;   in Loop: Header=BB4_808 Depth=2
	s_delay_alu instid0(SALU_CYCLE_1) | instskip(SKIP_1) | instid1(VALU_DEP_1)
	s_or_b32 exec_lo, exec_lo, s17
	v_lshlrev_b32_e32 v100, 8, v118
	v_cmp_ne_u32_e32 vcc_lo, v114, v100
	s_and_b32 exec_lo, exec_lo, vcc_lo
	s_cbranch_execz .LBB4_904
; %bb.901:                              ;   in Loop: Header=BB4_808 Depth=2
	v_dual_add_nc_u32 v101, v115, v117 :: v_dual_lshlrev_b32 v102, 5, v116
	s_delay_alu instid0(VALU_DEP_1) | instskip(NEXT) | instid1(VALU_DEP_1)
	v_and_b32_e32 v101, 0xffffffe0, v101
	v_sub_nc_u32_e32 v101, v115, v101
	s_delay_alu instid0(VALU_DEP_1) | instskip(NEXT) | instid1(VALU_DEP_1)
	v_sub_nc_u32_e32 v101, v101, v102
	v_add_nc_u32_e32 v102, v100, v101
	s_delay_alu instid0(VALU_DEP_1) | instskip(NEXT) | instid1(VALU_DEP_1)
	v_sub_nc_u32_e32 v112, v114, v102
	v_cmp_lt_i32_e32 vcc_lo, 0, v112
	s_and_b32 exec_lo, exec_lo, vcc_lo
	s_cbranch_execz .LBB4_904
; %bb.902:                              ;   in Loop: Header=BB4_808 Depth=2
	s_trap 2
	ds_load_b64 v[100:101], v0
	v_add_nc_u32_e32 v102, v102, v48
	s_mov_b32 s17, 0
	s_delay_alu instid0(VALU_DEP_1)
	v_ashrrev_i32_e32 v103, 31, v102
.LBB4_903:                              ;   Parent Loop BB4_73 Depth=1
                                        ;     Parent Loop BB4_808 Depth=2
                                        ; =>    This Inner Loop Header: Depth=3
	s_wait_dscnt 0x0
	s_delay_alu instid0(VALU_DEP_1) | instskip(SKIP_2) | instid1(VALU_DEP_2)
	v_add_nc_u64_e32 v[114:115], v[100:101], v[102:103]
	v_sub_nc_u32_e32 v112, v112, v57
	v_add_nc_u64_e32 v[102:103], v[102:103], v[84:85]
	v_cmp_gt_i32_e32 vcc_lo, 1, v112
	flat_load_u8 v48, v[114:115] th:TH_LOAD_NT
	s_or_b32 s17, vcc_lo, s17
	s_wait_loadcnt_dscnt 0x0
	flat_store_b8 v[114:115], v48 th:TH_STORE_NT
	s_wait_xcnt 0x0
	s_and_not1_b32 exec_lo, exec_lo, s17
	s_cbranch_execnz .LBB4_903
.LBB4_904:                              ;   in Loop: Header=BB4_808 Depth=2
	s_or_b32 exec_lo, exec_lo, s12
	v_cmp_lt_i32_e64 s12, 0, v3
	s_and_saveexec_b32 s17, s1
	s_cbranch_execz .LBB4_879
.LBB4_905:                              ;   in Loop: Header=BB4_808 Depth=2
	s_and_saveexec_b32 s28, s2
	s_delay_alu instid0(SALU_CYCLE_1)
	s_xor_b32 s28, exec_lo, s28
	s_cbranch_execz .LBB4_920
; %bb.906:                              ;   in Loop: Header=BB4_808 Depth=2
	s_and_saveexec_b32 s29, s5
	s_cbranch_execz .LBB4_919
; %bb.907:                              ;   in Loop: Header=BB4_808 Depth=2
	s_mov_b32 s41, exec_lo
	s_mov_b32 s40, exec_lo
	v_mbcnt_lo_u32_b32 v3, s41, 0
	global_wb scope:SCOPE_DEV
	s_wait_storecnt 0x0
	s_wait_loadcnt_dscnt 0x0
	global_inv scope:SCOPE_DEV
	v_cmpx_eq_u32_e32 0, v3
	s_cbranch_execz .LBB4_909
; %bb.908:                              ;   in Loop: Header=BB4_808 Depth=2
	s_bcnt1_i32_b32 s41, s41
	s_delay_alu instid0(SALU_CYCLE_1)
	v_mov_b32_e32 v48, s41
	s_wait_loadcnt 0x0
	ds_add_u64 v0, v[48:49]
	s_trap 2
.LBB4_909:                              ;   in Loop: Header=BB4_808 Depth=2
	s_or_b32 exec_lo, exec_lo, s40
	s_trap 2
	ds_load_b64 v[100:101], v0
	s_wait_dscnt 0x0
	v_add_nc_u64_e32 v[14:15], v[14:15], v[50:51]
	s_mov_b32 s40, exec_lo
	s_delay_alu instid0(VALU_DEP_1)
	v_cmpx_lt_u64_e64 v[100:101], v[14:15]
	s_cbranch_execz .LBB4_918
; %bb.910:                              ;   in Loop: Header=BB4_808 Depth=2
	s_mov_b32 s41, 0
	s_mov_b32 s44, 0
                                        ; implicit-def: $sgpr42
                                        ; implicit-def: $sgpr43
	s_branch .LBB4_912
.LBB4_911:                              ;   in Loop: Header=BB4_912 Depth=3
	s_or_b32 exec_lo, exec_lo, s46
	s_delay_alu instid0(SALU_CYCLE_1) | instskip(NEXT) | instid1(SALU_CYCLE_1)
	s_and_b32 s45, exec_lo, s47
	s_or_b32 s41, s45, s41
	s_and_not1_b32 s42, s42, exec_lo
	s_and_b32 s45, s43, exec_lo
	s_delay_alu instid0(SALU_CYCLE_1)
	s_or_b32 s42, s42, s45
	s_and_not1_b32 exec_lo, exec_lo, s41
	s_cbranch_execz .LBB4_916
.LBB4_912:                              ;   Parent Loop BB4_73 Depth=1
                                        ;     Parent Loop BB4_808 Depth=2
                                        ; =>    This Inner Loop Header: Depth=3
	s_add_co_i32 s44, s44, 1
	s_delay_alu instid0(SALU_CYCLE_1) | instskip(SKIP_1) | instid1(SALU_CYCLE_1)
	s_cmp_lg_u32 s44, 0x2710
	s_cselect_b32 s45, -1, 0
	s_and_b32 vcc_lo, exec_lo, s45
	s_cbranch_vccz .LBB4_914
; %bb.913:                              ;   in Loop: Header=BB4_912 Depth=3
	s_mov_b32 s47, -1
	s_or_b32 s43, s43, exec_lo
	s_and_saveexec_b32 s46, s45
	s_cbranch_execz .LBB4_911
	s_branch .LBB4_915
.LBB4_914:                              ;   in Loop: Header=BB4_912 Depth=3
	s_trap 2
	ds_load_b64 v[100:101], v0
	s_and_not1_b32 s45, s45, exec_lo
	s_mov_b32 s44, 0
	s_wait_loadcnt_dscnt 0x0
	flat_load_b32 v3, v[100:101] scope:SCOPE_SYS
	s_wait_loadcnt_dscnt 0x0
	global_inv scope:SCOPE_SYS
	v_cmp_eq_u32_e32 vcc_lo, 0, v3
	s_and_b32 s46, vcc_lo, exec_lo
	s_delay_alu instid0(SALU_CYCLE_1)
	s_or_b32 s45, s45, s46
	s_mov_b32 s47, -1
	s_or_b32 s43, s43, exec_lo
	s_and_saveexec_b32 s46, s45
	s_cbranch_execz .LBB4_911
.LBB4_915:                              ;   in Loop: Header=BB4_912 Depth=3
	s_sleep 1
	s_trap 2
	ds_load_b64 v[100:101], v0
	s_wait_dscnt 0x0
	s_and_not1_b32 s43, s43, exec_lo
	v_cmp_ge_u64_e32 vcc_lo, v[100:101], v[14:15]
	s_or_not1_b32 s47, vcc_lo, exec_lo
	s_branch .LBB4_911
.LBB4_916:                              ;   in Loop: Header=BB4_808 Depth=2
	s_or_b32 exec_lo, exec_lo, s41
	s_and_saveexec_b32 s41, s42
	s_delay_alu instid0(SALU_CYCLE_1)
	s_xor_b32 s41, exec_lo, s41
	s_cbranch_execz .LBB4_918
; %bb.917:                              ;   in Loop: Header=BB4_808 Depth=2
	ds_store_b32 v0, v58
	s_trap 2
.LBB4_918:                              ;   in Loop: Header=BB4_808 Depth=2
	s_or_b32 exec_lo, exec_lo, s40
	;;#ASMSTART
	s_wakeup
	;;#ASMEND
.LBB4_919:                              ;   in Loop: Header=BB4_808 Depth=2
	s_or_b32 exec_lo, exec_lo, s29
.LBB4_920:                              ;   in Loop: Header=BB4_808 Depth=2
	s_and_not1_saveexec_b32 s28, s28
	s_cbranch_execz .LBB4_922
; %bb.921:                              ;   in Loop: Header=BB4_808 Depth=2
	global_wb scope:SCOPE_DEV
	s_wait_storecnt 0x0
	s_wait_loadcnt_dscnt 0x0
	global_inv scope:SCOPE_DEV
	s_barrier_signal -1
	s_barrier_wait -1
.LBB4_922:                              ;   in Loop: Header=BB4_808 Depth=2
	s_or_b32 exec_lo, exec_lo, s28
	s_delay_alu instid0(SALU_CYCLE_1) | instskip(SKIP_1) | instid1(SALU_CYCLE_1)
	s_or_b32 exec_lo, exec_lo, s17
	s_and_saveexec_b32 s17, s7
	s_xor_b32 s17, exec_lo, s17
	s_cbranch_execnz .LBB4_880
.LBB4_923:                              ;   in Loop: Header=BB4_808 Depth=2
	s_and_not1_saveexec_b32 s12, s17
	s_cbranch_execz .LBB4_942
.LBB4_924:                              ;   in Loop: Header=BB4_808 Depth=2
	s_and_saveexec_b32 s17, s2
	s_delay_alu instid0(SALU_CYCLE_1)
	s_xor_b32 s17, exec_lo, s17
	s_cbranch_execz .LBB4_939
; %bb.925:                              ;   in Loop: Header=BB4_808 Depth=2
	s_and_saveexec_b32 s28, s5
	s_cbranch_execz .LBB4_938
; %bb.926:                              ;   in Loop: Header=BB4_808 Depth=2
	s_mov_b32 s40, exec_lo
	s_mov_b32 s29, exec_lo
	v_mbcnt_lo_u32_b32 v3, s40, 0
	;;#ASMSTART
	s_waitcnt lgkmcnt(0) vmcnt(0)
	;;#ASMEND
	s_delay_alu instid0(VALU_DEP_1)
	v_cmpx_eq_u32_e32 0, v3
	s_cbranch_execz .LBB4_928
; %bb.927:                              ;   in Loop: Header=BB4_808 Depth=2
	s_bcnt1_i32_b32 s40, s40
	s_delay_alu instid0(SALU_CYCLE_1)
	v_mov_b32_e32 v48, s40
	s_wait_storecnt 0x0
	s_wait_loadcnt_dscnt 0x0
	ds_add_u64 v0, v[48:49]
	s_trap 2
.LBB4_928:                              ;   in Loop: Header=BB4_808 Depth=2
	s_or_b32 exec_lo, exec_lo, s29
	s_trap 2
	ds_load_b64 v[100:101], v0
	s_wait_dscnt 0x0
	v_add_nc_u64_e32 v[14:15], v[14:15], v[50:51]
	s_mov_b32 s29, exec_lo
	s_delay_alu instid0(VALU_DEP_1)
	v_cmpx_lt_u64_e64 v[100:101], v[14:15]
	s_cbranch_execz .LBB4_937
; %bb.929:                              ;   in Loop: Header=BB4_808 Depth=2
	s_mov_b32 s40, 0
	s_mov_b32 s43, 0
                                        ; implicit-def: $sgpr41
                                        ; implicit-def: $sgpr42
	s_branch .LBB4_931
.LBB4_930:                              ;   in Loop: Header=BB4_931 Depth=3
	s_or_b32 exec_lo, exec_lo, s45
	s_delay_alu instid0(SALU_CYCLE_1) | instskip(NEXT) | instid1(SALU_CYCLE_1)
	s_and_b32 s44, exec_lo, s46
	s_or_b32 s40, s44, s40
	s_and_not1_b32 s41, s41, exec_lo
	s_and_b32 s44, s42, exec_lo
	s_delay_alu instid0(SALU_CYCLE_1)
	s_or_b32 s41, s41, s44
	s_and_not1_b32 exec_lo, exec_lo, s40
	s_cbranch_execz .LBB4_935
.LBB4_931:                              ;   Parent Loop BB4_73 Depth=1
                                        ;     Parent Loop BB4_808 Depth=2
                                        ; =>    This Inner Loop Header: Depth=3
	s_add_co_i32 s43, s43, 1
	s_delay_alu instid0(SALU_CYCLE_1) | instskip(SKIP_1) | instid1(SALU_CYCLE_1)
	s_cmp_lg_u32 s43, 0x2710
	s_cselect_b32 s44, -1, 0
	s_and_b32 vcc_lo, exec_lo, s44
	s_cbranch_vccz .LBB4_933
; %bb.932:                              ;   in Loop: Header=BB4_931 Depth=3
	s_mov_b32 s46, -1
	s_or_b32 s42, s42, exec_lo
	s_and_saveexec_b32 s45, s44
	s_cbranch_execz .LBB4_930
	s_branch .LBB4_934
.LBB4_933:                              ;   in Loop: Header=BB4_931 Depth=3
	s_trap 2
	ds_load_b64 v[100:101], v0
	s_and_not1_b32 s44, s44, exec_lo
	s_mov_b32 s43, 0
	s_wait_storecnt 0x0
	s_wait_loadcnt_dscnt 0x0
	flat_load_b32 v3, v[100:101] scope:SCOPE_SYS
	s_wait_loadcnt_dscnt 0x0
	global_inv scope:SCOPE_SYS
	v_cmp_eq_u32_e32 vcc_lo, 0, v3
	s_and_b32 s45, vcc_lo, exec_lo
	s_delay_alu instid0(SALU_CYCLE_1)
	s_or_b32 s44, s44, s45
	s_mov_b32 s46, -1
	s_or_b32 s42, s42, exec_lo
	s_and_saveexec_b32 s45, s44
	s_cbranch_execz .LBB4_930
.LBB4_934:                              ;   in Loop: Header=BB4_931 Depth=3
	s_sleep 1
	s_trap 2
	ds_load_b64 v[100:101], v0
	s_wait_dscnt 0x0
	s_and_not1_b32 s42, s42, exec_lo
	v_cmp_ge_u64_e32 vcc_lo, v[100:101], v[14:15]
	s_or_not1_b32 s46, vcc_lo, exec_lo
	s_branch .LBB4_930
.LBB4_935:                              ;   in Loop: Header=BB4_808 Depth=2
	s_or_b32 exec_lo, exec_lo, s40
	s_and_saveexec_b32 s40, s41
	s_delay_alu instid0(SALU_CYCLE_1)
	s_xor_b32 s40, exec_lo, s40
	s_cbranch_execz .LBB4_937
; %bb.936:                              ;   in Loop: Header=BB4_808 Depth=2
	ds_store_b32 v0, v58
	s_trap 2
.LBB4_937:                              ;   in Loop: Header=BB4_808 Depth=2
	s_or_b32 exec_lo, exec_lo, s29
	;;#ASMSTART
	s_wakeup
	;;#ASMEND
.LBB4_938:                              ;   in Loop: Header=BB4_808 Depth=2
	s_or_b32 exec_lo, exec_lo, s28
.LBB4_939:                              ;   in Loop: Header=BB4_808 Depth=2
	s_and_not1_saveexec_b32 s17, s17
	s_cbranch_execz .LBB4_941
; %bb.940:                              ;   in Loop: Header=BB4_808 Depth=2
	;;#ASMSTART
	s_waitcnt lgkmcnt(0) vmcnt(0)
	;;#ASMEND
	s_barrier_signal -1
	s_barrier_wait -1
.LBB4_941:                              ;   in Loop: Header=BB4_808 Depth=2
	s_or_b32 exec_lo, exec_lo, s17
.LBB4_942:                              ;   in Loop: Header=BB4_808 Depth=2
	s_delay_alu instid0(SALU_CYCLE_1) | instskip(SKIP_2) | instid1(VALU_DEP_1)
	s_or_b32 exec_lo, exec_lo, s12
	v_and_b32_e32 v3, 32, v30
	s_mov_b32 s12, exec_lo
	v_cmpx_ne_u32_e32 0, v3
	s_cbranch_execz .LBB4_807
; %bb.943:                              ;   in Loop: Header=BB4_808 Depth=2
	v_add_nc_u64_e32 v[98:99], 2, v[98:99]
	global_wb scope:SCOPE_SYS
	s_wait_storecnt 0x0
	s_wait_loadcnt_dscnt 0x0
	flat_store_b64 v[26:27], v[98:99] scope:SCOPE_SYS
	s_branch .LBB4_807
.LBB4_944:                              ;   in Loop: Header=BB4_73 Depth=1
	s_or_b32 exec_lo, exec_lo, s14
.LBB4_945:                              ;   in Loop: Header=BB4_73 Depth=1
	s_delay_alu instid0(SALU_CYCLE_1) | instskip(NEXT) | instid1(SALU_CYCLE_1)
	s_or_b32 exec_lo, exec_lo, s13
	s_mov_b32 s13, exec_lo
	v_cmpx_gt_i32_e32 2, v3
	s_cbranch_execz .LBB4_72
; %bb.946:                              ;   in Loop: Header=BB4_73 Depth=1
	v_cmp_eq_u32_e64 s15, 0, v3
	s_mov_b32 s14, 0
	s_branch .LBB4_948
.LBB4_947:                              ;   in Loop: Header=BB4_948 Depth=2
	s_wait_xcnt 0x0
	s_or_b32 exec_lo, exec_lo, s12
	v_add_nc_u32_e32 v2, v73, v2
	s_mov_b32 s15, 0
	s_and_not1_b32 exec_lo, exec_lo, s14
	s_cbranch_execz .LBB4_71
.LBB4_948:                              ;   Parent Loop BB4_73 Depth=1
                                        ; =>  This Loop Header: Depth=2
                                        ;       Child Loop BB4_954 Depth 3
                                        ;       Child Loop BB4_978 Depth 3
	;; [unrolled: 1-line block ×3, first 2 shown]
	v_and_b32_e32 v3, 4, v30
	s_mov_b32 s16, exec_lo
	s_delay_alu instid0(VALU_DEP_1)
	v_cmpx_ne_u32_e32 0, v3
	s_cbranch_execz .LBB4_970
; %bb.949:                              ;   in Loop: Header=BB4_948 Depth=2
	v_add_nc_u64_e32 v[4:5], 2, v[98:99]
	s_mov_b32 s17, exec_lo
	s_wait_loadcnt_dscnt 0x1
	s_delay_alu instid0(VALU_DEP_1)
	v_cmpx_lt_u64_e64 v[36:37], v[4:5]
	s_cbranch_execz .LBB4_961
; %bb.950:                              ;   in Loop: Header=BB4_948 Depth=2
	v_and_b32_e32 v3, 64, v30
	s_mov_b32 s28, 0
	s_mov_b32 s42, 0
                                        ; implicit-def: $sgpr29
                                        ; implicit-def: $sgpr40
                                        ; implicit-def: $sgpr41
	s_delay_alu instid0(VALU_DEP_1)
	v_cmp_eq_u32_e32 vcc_lo, 0, v3
	s_branch .LBB4_954
.LBB4_951:                              ;   in Loop: Header=BB4_954 Depth=3
	s_wait_loadcnt_dscnt 0x0
	v_cmp_ge_u64_e64 s12, v[36:37], v[4:5]
	s_or_b32 s45, s45, exec_lo
	s_or_not1_b32 s44, s12, exec_lo
.LBB4_952:                              ;   in Loop: Header=BB4_954 Depth=3
	s_or_b32 exec_lo, exec_lo, s47
	s_delay_alu instid0(SALU_CYCLE_1)
	s_and_not1_b32 s12, s41, exec_lo
	s_and_b32 s41, s45, exec_lo
	s_and_not1_b32 s40, s40, exec_lo
	s_and_b32 s44, s44, exec_lo
	s_or_b32 s41, s12, s41
	s_or_b32 s40, s40, s44
.LBB4_953:                              ;   in Loop: Header=BB4_954 Depth=3
	s_or_b32 exec_lo, exec_lo, s43
	s_delay_alu instid0(SALU_CYCLE_1) | instskip(NEXT) | instid1(SALU_CYCLE_1)
	s_and_b32 s12, exec_lo, s40
	s_or_b32 s28, s12, s28
	s_and_not1_b32 s12, s29, exec_lo
	s_and_b32 s29, s41, exec_lo
	s_delay_alu instid0(SALU_CYCLE_1)
	s_or_b32 s29, s12, s29
	s_and_not1_b32 exec_lo, exec_lo, s28
	s_cbranch_execz .LBB4_958
.LBB4_954:                              ;   Parent Loop BB4_73 Depth=1
                                        ;     Parent Loop BB4_948 Depth=2
                                        ; =>    This Inner Loop Header: Depth=3
	s_sleep 1
	s_wait_loadcnt_dscnt 0x0
	flat_load_b64 v[36:37], v[26:27] scope:SCOPE_SYS
	s_or_b32 s41, s41, exec_lo
	s_or_b32 s40, s40, exec_lo
                                        ; implicit-def: $vgpr3
	s_wait_xcnt 0x0
	s_and_saveexec_b32 s43, vcc_lo
	s_cbranch_execz .LBB4_953
; %bb.955:                              ;   in Loop: Header=BB4_954 Depth=3
	s_cmp_lt_i32 s42, 0x270f
	s_mov_b32 s44, -1
	s_cselect_b32 s46, -1, 0
	s_cmp_gt_i32 s42, 0x270e
	s_cbranch_scc0 .LBB4_957
; %bb.956:                              ;   in Loop: Header=BB4_954 Depth=3
	s_trap 2
	ds_load_b64 v[100:101], v0
	s_and_not1_b32 s42, s46, exec_lo
	s_mov_b32 s45, 0
	s_wait_storecnt 0x0
	s_wait_loadcnt_dscnt 0x0
	flat_load_b32 v3, v[100:101] scope:SCOPE_SYS
	s_wait_loadcnt_dscnt 0x0
	global_inv scope:SCOPE_SYS
	v_cmp_eq_u32_e64 s12, 0, v3
	s_and_b32 s12, s12, exec_lo
	s_delay_alu instid0(SALU_CYCLE_1)
	s_or_b32 s46, s42, s12
	s_mov_b32 s42, 0
	s_and_saveexec_b32 s47, s46
	s_cbranch_execz .LBB4_952
	s_branch .LBB4_951
.LBB4_957:                              ;   in Loop: Header=BB4_954 Depth=3
	s_add_co_i32 s42, s42, 1
	s_mov_b32 s45, -1
                                        ; implicit-def: $vgpr3
	s_and_saveexec_b32 s47, s46
	s_cbranch_execz .LBB4_952
	s_branch .LBB4_951
.LBB4_958:                              ;   in Loop: Header=BB4_948 Depth=2
	s_or_b32 exec_lo, exec_lo, s28
	s_xor_b32 s12, s29, -1
	s_delay_alu instid0(SALU_CYCLE_1) | instskip(NEXT) | instid1(SALU_CYCLE_1)
	s_and_saveexec_b32 s28, s12
	s_xor_b32 s12, exec_lo, s28
	s_cbranch_execz .LBB4_960
; %bb.959:                              ;   in Loop: Header=BB4_948 Depth=2
	v_or_b32_e32 v30, 64, v30
	s_wait_storecnt 0x0
	s_wait_loadcnt_dscnt 0x0
	ds_store_b32 v0, v3
	s_trap 2
.LBB4_960:                              ;   in Loop: Header=BB4_948 Depth=2
	s_or_b32 exec_lo, exec_lo, s12
.LBB4_961:                              ;   in Loop: Header=BB4_948 Depth=2
	s_delay_alu instid0(SALU_CYCLE_1)
	s_or_b32 exec_lo, exec_lo, s17
	v_and_b32_e32 v3, 0x100, v30
	v_and_b32_e32 v48, 7, v98
	s_mov_b32 s12, -1
	s_mov_b32 s17, exec_lo
	;;#ASMSTART
	s_wakeup
	;;#ASMEND
                                        ; implicit-def: $vgpr98_vgpr99
	v_cmpx_ne_u32_e32 0, v3
	s_cbranch_execz .LBB4_965
; %bb.962:                              ;   in Loop: Header=BB4_948 Depth=2
	v_mad_nc_u64_u32 v[100:101], v48, 24, v[12:13]
	s_mov_b32 s28, exec_lo
                                        ; implicit-def: $vgpr98_vgpr99
	flat_load_b32 v3, v[100:101]
	s_wait_loadcnt_dscnt 0x0
	v_cmp_ne_u32_e32 vcc_lo, 1, v3
	s_wait_xcnt 0x0
	v_cmpx_eq_u32_e32 1, v3
	s_cbranch_execz .LBB4_964
; %bb.963:                              ;   in Loop: Header=BB4_948 Depth=2
	flat_load_b32 v98, v[100:101] offset:4 scope:SCOPE_SYS
	s_wait_loadcnt_dscnt 0x0
	v_ashrrev_i32_e32 v99, 31, v98
.LBB4_964:                              ;   in Loop: Header=BB4_948 Depth=2
	s_wait_xcnt 0x0
	s_or_b32 exec_lo, exec_lo, s28
	s_delay_alu instid0(SALU_CYCLE_1)
	s_or_not1_b32 s12, vcc_lo, exec_lo
.LBB4_965:                              ;   in Loop: Header=BB4_948 Depth=2
	s_or_b32 exec_lo, exec_lo, s17
	s_and_saveexec_b32 s17, s12
; %bb.966:                              ;   in Loop: Header=BB4_948 Depth=2
	v_mul_u64_e32 v[98:99], v[48:49], v[28:29]
; %bb.967:                              ;   in Loop: Header=BB4_948 Depth=2
	s_or_b32 exec_lo, exec_lo, s17
	s_delay_alu instid0(VALU_DEP_1)
	v_add_nc_u64_e32 v[98:99], v[32:33], v[98:99]
	v_and_b32_e32 v3, 0x2000, v30
	s_mov_b32 s12, exec_lo
	ds_store_b64 v0, v[98:99] offset:720
	v_cmpx_ne_u32_e32 0, v3
	s_cbranch_execz .LBB4_969
; %bb.968:                              ;   in Loop: Header=BB4_948 Depth=2
	ds_load_b64 v[98:99], v0 offset:872
	s_wait_dscnt 0x0
	v_add_nc_u64_e32 v[98:99], 1, v[98:99]
	ds_store_b64 v0, v[98:99] offset:872
.LBB4_969:                              ;   in Loop: Header=BB4_948 Depth=2
	s_or_b32 exec_lo, exec_lo, s12
	v_mov_b64_e32 v[98:99], v[4:5]
.LBB4_970:                              ;   in Loop: Header=BB4_948 Depth=2
	s_or_b32 exec_lo, exec_lo, s16
	s_xor_b32 s12, s15, -1
	s_delay_alu instid0(SALU_CYCLE_1) | instskip(NEXT) | instid1(SALU_CYCLE_1)
	s_and_b32 s12, exec_lo, s12
	s_or_b32 s14, s12, s14
	s_and_saveexec_b32 s12, s1
	s_cbranch_execz .LBB4_989
; %bb.971:                              ;   in Loop: Header=BB4_948 Depth=2
	s_and_saveexec_b32 s15, s2
	s_delay_alu instid0(SALU_CYCLE_1)
	s_xor_b32 s15, exec_lo, s15
	s_cbranch_execz .LBB4_986
; %bb.972:                              ;   in Loop: Header=BB4_948 Depth=2
	s_and_saveexec_b32 s16, s5
	s_cbranch_execz .LBB4_985
; %bb.973:                              ;   in Loop: Header=BB4_948 Depth=2
	s_mov_b32 s28, exec_lo
	s_mov_b32 s17, exec_lo
	v_mbcnt_lo_u32_b32 v3, s28, 0
	global_wb scope:SCOPE_DEV
	s_wait_storecnt 0x0
	s_wait_loadcnt_dscnt 0x0
	global_inv scope:SCOPE_DEV
	v_cmpx_eq_u32_e32 0, v3
	s_cbranch_execz .LBB4_975
; %bb.974:                              ;   in Loop: Header=BB4_948 Depth=2
	s_bcnt1_i32_b32 s28, s28
	s_delay_alu instid0(SALU_CYCLE_1)
	v_mov_b32_e32 v48, s28
	s_wait_loadcnt 0x0
	ds_add_u64 v0, v[48:49]
	s_trap 2
.LBB4_975:                              ;   in Loop: Header=BB4_948 Depth=2
	s_or_b32 exec_lo, exec_lo, s17
	s_trap 2
	ds_load_b64 v[4:5], v0
	s_wait_dscnt 0x0
	v_add_nc_u64_e32 v[14:15], v[14:15], v[50:51]
	s_mov_b32 s17, exec_lo
	s_delay_alu instid0(VALU_DEP_1)
	v_cmpx_lt_u64_e64 v[4:5], v[14:15]
	s_cbranch_execz .LBB4_984
; %bb.976:                              ;   in Loop: Header=BB4_948 Depth=2
	s_mov_b32 s28, 0
	s_mov_b32 s41, 0
                                        ; implicit-def: $sgpr29
                                        ; implicit-def: $sgpr40
	s_branch .LBB4_978
.LBB4_977:                              ;   in Loop: Header=BB4_978 Depth=3
	s_or_b32 exec_lo, exec_lo, s43
	s_delay_alu instid0(SALU_CYCLE_1) | instskip(NEXT) | instid1(SALU_CYCLE_1)
	s_and_b32 s42, exec_lo, s44
	s_or_b32 s28, s42, s28
	s_and_not1_b32 s29, s29, exec_lo
	s_and_b32 s42, s40, exec_lo
	s_delay_alu instid0(SALU_CYCLE_1)
	s_or_b32 s29, s29, s42
	s_and_not1_b32 exec_lo, exec_lo, s28
	s_cbranch_execz .LBB4_982
.LBB4_978:                              ;   Parent Loop BB4_73 Depth=1
                                        ;     Parent Loop BB4_948 Depth=2
                                        ; =>    This Inner Loop Header: Depth=3
	s_add_co_i32 s41, s41, 1
	s_delay_alu instid0(SALU_CYCLE_1) | instskip(SKIP_1) | instid1(SALU_CYCLE_1)
	s_cmp_lg_u32 s41, 0x2710
	s_cselect_b32 s42, -1, 0
	s_and_b32 vcc_lo, exec_lo, s42
	s_cbranch_vccz .LBB4_980
; %bb.979:                              ;   in Loop: Header=BB4_978 Depth=3
	s_mov_b32 s44, -1
	s_or_b32 s40, s40, exec_lo
	s_and_saveexec_b32 s43, s42
	s_cbranch_execz .LBB4_977
	s_branch .LBB4_981
.LBB4_980:                              ;   in Loop: Header=BB4_978 Depth=3
	s_trap 2
	ds_load_b64 v[4:5], v0
	s_and_not1_b32 s42, s42, exec_lo
	s_mov_b32 s41, 0
	s_wait_loadcnt_dscnt 0x0
	flat_load_b32 v3, v[4:5] scope:SCOPE_SYS
	s_wait_loadcnt_dscnt 0x0
	global_inv scope:SCOPE_SYS
	v_cmp_eq_u32_e32 vcc_lo, 0, v3
	s_and_b32 s43, vcc_lo, exec_lo
	s_delay_alu instid0(SALU_CYCLE_1)
	s_or_b32 s42, s42, s43
	s_mov_b32 s44, -1
	s_or_b32 s40, s40, exec_lo
	s_and_saveexec_b32 s43, s42
	s_cbranch_execz .LBB4_977
.LBB4_981:                              ;   in Loop: Header=BB4_978 Depth=3
	s_sleep 1
	s_trap 2
	ds_load_b64 v[4:5], v0
	s_wait_dscnt 0x0
	s_and_not1_b32 s40, s40, exec_lo
	v_cmp_ge_u64_e32 vcc_lo, v[4:5], v[14:15]
	s_or_not1_b32 s44, vcc_lo, exec_lo
	s_branch .LBB4_977
.LBB4_982:                              ;   in Loop: Header=BB4_948 Depth=2
	s_or_b32 exec_lo, exec_lo, s28
	s_and_saveexec_b32 s28, s29
	s_delay_alu instid0(SALU_CYCLE_1)
	s_xor_b32 s28, exec_lo, s28
	s_cbranch_execz .LBB4_984
; %bb.983:                              ;   in Loop: Header=BB4_948 Depth=2
	ds_store_b32 v0, v58
	s_trap 2
.LBB4_984:                              ;   in Loop: Header=BB4_948 Depth=2
	s_or_b32 exec_lo, exec_lo, s17
	;;#ASMSTART
	s_wakeup
	;;#ASMEND
.LBB4_985:                              ;   in Loop: Header=BB4_948 Depth=2
	s_or_b32 exec_lo, exec_lo, s16
.LBB4_986:                              ;   in Loop: Header=BB4_948 Depth=2
	s_and_not1_saveexec_b32 s15, s15
	s_cbranch_execz .LBB4_988
; %bb.987:                              ;   in Loop: Header=BB4_948 Depth=2
	global_wb scope:SCOPE_DEV
	s_wait_storecnt 0x0
	s_wait_loadcnt_dscnt 0x0
	global_inv scope:SCOPE_DEV
	s_barrier_signal -1
	s_barrier_wait -1
.LBB4_988:                              ;   in Loop: Header=BB4_948 Depth=2
	s_or_b32 exec_lo, exec_lo, s15
.LBB4_989:                              ;   in Loop: Header=BB4_948 Depth=2
	s_delay_alu instid0(SALU_CYCLE_1) | instskip(SKIP_1) | instid1(VALU_DEP_1)
	s_or_b32 exec_lo, exec_lo, s12
	v_sub_nc_u32_e32 v3, v72, v2
	v_min_i32_e32 v73, v73, v3
	s_and_saveexec_b32 s12, s7
	s_delay_alu instid0(SALU_CYCLE_1)
	s_xor_b32 s15, exec_lo, s12
	s_cbranch_execz .LBB4_993
; %bb.990:                              ;   in Loop: Header=BB4_948 Depth=2
	s_trap 2
	ds_load_b32 v3, v0
	v_cmp_lt_i32_e32 vcc_lo, 0, v73
	s_wait_dscnt 0x0
	v_readfirstlane_b32 s12, v3
	v_and_b32_e32 v3, 16, v30
	s_cmp_eq_u32 s12, 0
	s_delay_alu instid0(VALU_DEP_1) | instskip(SKIP_1) | instid1(SALU_CYCLE_1)
	v_cmp_ne_u32_e64 s12, 0, v3
	s_cselect_b32 s16, -1, 0
	s_and_b32 s16, vcc_lo, s16
	s_delay_alu instid0(SALU_CYCLE_1) | instskip(NEXT) | instid1(SALU_CYCLE_1)
	s_and_b32 s16, s12, s16
	s_and_saveexec_b32 s12, s16
	s_cbranch_execz .LBB4_992
; %bb.991:                              ;   in Loop: Header=BB4_948 Depth=2
	global_wb scope:SCOPE_SYS
	s_wait_loadcnt 0x0
	s_wait_storecnt 0x0
	global_inv scope:SCOPE_SYS
.LBB4_992:                              ;   in Loop: Header=BB4_948 Depth=2
	s_or_b32 exec_lo, exec_lo, s12
.LBB4_993:                              ;   in Loop: Header=BB4_948 Depth=2
	s_and_not1_saveexec_b32 s12, s15
	s_cbranch_execz .LBB4_1012
; %bb.994:                              ;   in Loop: Header=BB4_948 Depth=2
	s_and_saveexec_b32 s15, s2
	s_delay_alu instid0(SALU_CYCLE_1)
	s_xor_b32 s15, exec_lo, s15
	s_cbranch_execz .LBB4_1009
; %bb.995:                              ;   in Loop: Header=BB4_948 Depth=2
	s_and_saveexec_b32 s16, s5
	s_cbranch_execz .LBB4_1008
; %bb.996:                              ;   in Loop: Header=BB4_948 Depth=2
	s_mov_b32 s28, exec_lo
	s_mov_b32 s17, exec_lo
	v_mbcnt_lo_u32_b32 v3, s28, 0
	;;#ASMSTART
	s_waitcnt lgkmcnt(0) vmcnt(0)
	;;#ASMEND
	s_delay_alu instid0(VALU_DEP_1)
	v_cmpx_eq_u32_e32 0, v3
	s_cbranch_execz .LBB4_998
; %bb.997:                              ;   in Loop: Header=BB4_948 Depth=2
	s_bcnt1_i32_b32 s28, s28
	s_delay_alu instid0(SALU_CYCLE_1)
	v_mov_b32_e32 v48, s28
	s_wait_storecnt 0x0
	s_wait_loadcnt_dscnt 0x0
	ds_add_u64 v0, v[48:49]
	s_trap 2
.LBB4_998:                              ;   in Loop: Header=BB4_948 Depth=2
	s_or_b32 exec_lo, exec_lo, s17
	s_trap 2
	ds_load_b64 v[4:5], v0
	s_wait_dscnt 0x0
	v_add_nc_u64_e32 v[14:15], v[14:15], v[50:51]
	s_mov_b32 s17, exec_lo
	s_delay_alu instid0(VALU_DEP_1)
	v_cmpx_lt_u64_e64 v[4:5], v[14:15]
	s_cbranch_execz .LBB4_1007
; %bb.999:                              ;   in Loop: Header=BB4_948 Depth=2
	s_mov_b32 s28, 0
	s_mov_b32 s41, 0
                                        ; implicit-def: $sgpr29
                                        ; implicit-def: $sgpr40
	s_branch .LBB4_1001
.LBB4_1000:                             ;   in Loop: Header=BB4_1001 Depth=3
	s_or_b32 exec_lo, exec_lo, s43
	s_delay_alu instid0(SALU_CYCLE_1) | instskip(NEXT) | instid1(SALU_CYCLE_1)
	s_and_b32 s42, exec_lo, s44
	s_or_b32 s28, s42, s28
	s_and_not1_b32 s29, s29, exec_lo
	s_and_b32 s42, s40, exec_lo
	s_delay_alu instid0(SALU_CYCLE_1)
	s_or_b32 s29, s29, s42
	s_and_not1_b32 exec_lo, exec_lo, s28
	s_cbranch_execz .LBB4_1005
.LBB4_1001:                             ;   Parent Loop BB4_73 Depth=1
                                        ;     Parent Loop BB4_948 Depth=2
                                        ; =>    This Inner Loop Header: Depth=3
	s_add_co_i32 s41, s41, 1
	s_delay_alu instid0(SALU_CYCLE_1) | instskip(SKIP_1) | instid1(SALU_CYCLE_1)
	s_cmp_lg_u32 s41, 0x2710
	s_cselect_b32 s42, -1, 0
	s_and_b32 vcc_lo, exec_lo, s42
	s_cbranch_vccz .LBB4_1003
; %bb.1002:                             ;   in Loop: Header=BB4_1001 Depth=3
	s_mov_b32 s44, -1
	s_or_b32 s40, s40, exec_lo
	s_and_saveexec_b32 s43, s42
	s_cbranch_execz .LBB4_1000
	s_branch .LBB4_1004
.LBB4_1003:                             ;   in Loop: Header=BB4_1001 Depth=3
	s_trap 2
	ds_load_b64 v[4:5], v0
	s_and_not1_b32 s42, s42, exec_lo
	s_mov_b32 s41, 0
	s_wait_storecnt 0x0
	s_wait_loadcnt_dscnt 0x0
	flat_load_b32 v3, v[4:5] scope:SCOPE_SYS
	s_wait_loadcnt_dscnt 0x0
	global_inv scope:SCOPE_SYS
	v_cmp_eq_u32_e32 vcc_lo, 0, v3
	s_and_b32 s43, vcc_lo, exec_lo
	s_delay_alu instid0(SALU_CYCLE_1)
	s_or_b32 s42, s42, s43
	s_mov_b32 s44, -1
	s_or_b32 s40, s40, exec_lo
	s_and_saveexec_b32 s43, s42
	s_cbranch_execz .LBB4_1000
.LBB4_1004:                             ;   in Loop: Header=BB4_1001 Depth=3
	s_sleep 1
	s_trap 2
	ds_load_b64 v[4:5], v0
	s_wait_dscnt 0x0
	s_and_not1_b32 s40, s40, exec_lo
	v_cmp_ge_u64_e32 vcc_lo, v[4:5], v[14:15]
	s_or_not1_b32 s44, vcc_lo, exec_lo
	s_branch .LBB4_1000
.LBB4_1005:                             ;   in Loop: Header=BB4_948 Depth=2
	s_or_b32 exec_lo, exec_lo, s28
	s_and_saveexec_b32 s28, s29
	s_delay_alu instid0(SALU_CYCLE_1)
	s_xor_b32 s28, exec_lo, s28
	s_cbranch_execz .LBB4_1007
; %bb.1006:                             ;   in Loop: Header=BB4_948 Depth=2
	ds_store_b32 v0, v58
	s_trap 2
.LBB4_1007:                             ;   in Loop: Header=BB4_948 Depth=2
	s_or_b32 exec_lo, exec_lo, s17
	;;#ASMSTART
	s_wakeup
	;;#ASMEND
.LBB4_1008:                             ;   in Loop: Header=BB4_948 Depth=2
	s_or_b32 exec_lo, exec_lo, s16
.LBB4_1009:                             ;   in Loop: Header=BB4_948 Depth=2
	s_and_not1_saveexec_b32 s15, s15
	s_cbranch_execz .LBB4_1011
; %bb.1010:                             ;   in Loop: Header=BB4_948 Depth=2
	;;#ASMSTART
	s_waitcnt lgkmcnt(0) vmcnt(0)
	;;#ASMEND
	s_barrier_signal -1
	s_barrier_wait -1
.LBB4_1011:                             ;   in Loop: Header=BB4_948 Depth=2
	s_or_b32 exec_lo, exec_lo, s15
.LBB4_1012:                             ;   in Loop: Header=BB4_948 Depth=2
	s_delay_alu instid0(SALU_CYCLE_1) | instskip(SKIP_2) | instid1(VALU_DEP_1)
	s_or_b32 exec_lo, exec_lo, s12
	v_and_b32_e32 v3, 32, v30
	s_mov_b32 s12, exec_lo
	v_cmpx_ne_u32_e32 0, v3
	s_cbranch_execz .LBB4_947
; %bb.1013:                             ;   in Loop: Header=BB4_948 Depth=2
	v_add_nc_u64_e32 v[98:99], 2, v[98:99]
	global_wb scope:SCOPE_SYS
	s_wait_storecnt 0x0
	s_wait_loadcnt_dscnt 0x0
	flat_store_b64 v[26:27], v[98:99] scope:SCOPE_SYS
	s_branch .LBB4_947
.LBB4_1014:
	s_or_b32 exec_lo, exec_lo, s22
.LBB4_1015:
	s_delay_alu instid0(SALU_CYCLE_1) | instskip(SKIP_2) | instid1(VALU_DEP_1)
	s_or_b32 exec_lo, exec_lo, s20
	v_and_b32_e32 v0, 0x800, v30
	s_mov_b32 s1, exec_lo
	v_cmpx_eq_u32_e32 0, v0
	s_cbranch_execz .LBB4_1048
; %bb.1016:
	v_and_b32_e32 v0, 48, v30
	s_mov_b32 s0, exec_lo
	s_delay_alu instid0(VALU_DEP_1)
	v_cmpx_ne_u32_e32 0, v0
	s_cbranch_execz .LBB4_1018
; %bb.1017:
	flat_store_b64 v[24:25], v[98:99] offset:104
.LBB4_1018:
	s_wait_xcnt 0x0
	s_or_b32 exec_lo, exec_lo, s0
	v_and_b32_e32 v0, 0x88, v30
	s_mov_b32 s2, exec_lo
	s_delay_alu instid0(VALU_DEP_1)
	v_cmpx_eq_u32_e32 0x88, v0
	s_cbranch_execz .LBB4_1028
; %bb.1019:
	v_add_nc_u32_e32 v0, 6, v98
	s_mov_b32 s3, 0
	s_delay_alu instid0(VALU_DEP_1) | instskip(NEXT) | instid1(VALU_DEP_1)
	v_and_b32_e32 v0, 7, v0
	v_mad_nc_u64_u32 v[2:3], v0, 24, v[12:13]
	v_and_b32_e32 v0, 64, v30
	s_delay_alu instid0(VALU_DEP_1)
	v_cmp_eq_u32_e64 s0, 0, v0
	flat_load_b64 v[4:5], v[2:3] offset:8 scope:SCOPE_SYS
	s_wait_loadcnt_dscnt 0x0
	v_cmp_ne_u64_e32 vcc_lo, -1, v[4:5]
	s_and_b32 s0, vcc_lo, s0
	s_wait_xcnt 0x0
	s_and_b32 exec_lo, exec_lo, s0
	s_cbranch_execz .LBB4_1028
; %bb.1020:
	s_mov_b32 s5, 0
                                        ; implicit-def: $sgpr0
                                        ; implicit-def: $sgpr4
	s_branch .LBB4_1023
.LBB4_1021:                             ;   in Loop: Header=BB4_1023 Depth=1
	flat_load_b64 v[4:5], v[2:3] offset:8 scope:SCOPE_SYS
	s_wait_loadcnt 0x0
	s_and_not1_b32 s4, s4, exec_lo
	s_wait_dscnt 0x0
	v_cmp_eq_u64_e32 vcc_lo, -1, v[4:5]
	s_or_not1_b32 s7, vcc_lo, exec_lo
.LBB4_1022:                             ;   in Loop: Header=BB4_1023 Depth=1
	s_wait_xcnt 0x0
	s_or_b32 exec_lo, exec_lo, s10
	s_delay_alu instid0(SALU_CYCLE_1) | instskip(NEXT) | instid1(SALU_CYCLE_1)
	s_and_b32 s6, exec_lo, s7
	s_or_b32 s3, s6, s3
	s_and_not1_b32 s0, s0, exec_lo
	s_and_b32 s6, s4, exec_lo
	s_delay_alu instid0(SALU_CYCLE_1)
	s_or_b32 s0, s0, s6
	s_and_not1_b32 exec_lo, exec_lo, s3
	s_cbranch_execz .LBB4_1026
.LBB4_1023:                             ; =>This Inner Loop Header: Depth=1
	s_cmp_lt_i32 s5, 0x270f
	s_cselect_b32 s6, -1, 0
	s_delay_alu instid0(SALU_CYCLE_1)
	s_and_b32 vcc_lo, exec_lo, s6
	s_cbranch_vccnz .LBB4_1025
; %bb.1024:                             ;   in Loop: Header=BB4_1023 Depth=1
	s_trap 2
	ds_load_b64 v[4:5], v0
	s_and_not1_b32 s6, s6, exec_lo
	s_mov_b32 s5, 0
	s_wait_storecnt_dscnt 0x0
	flat_load_b32 v0, v[4:5] scope:SCOPE_SYS
	s_wait_loadcnt_dscnt 0x0
	global_inv scope:SCOPE_SYS
	v_cmp_eq_u32_e32 vcc_lo, 0, v0
	s_and_b32 s7, vcc_lo, exec_lo
	s_delay_alu instid0(SALU_CYCLE_1)
	s_or_b32 s6, s6, s7
	s_mov_b32 s7, -1
	s_or_b32 s4, s4, exec_lo
	s_wait_xcnt 0x0
	s_and_saveexec_b32 s10, s6
	s_cbranch_execz .LBB4_1022
	s_branch .LBB4_1021
.LBB4_1025:                             ;   in Loop: Header=BB4_1023 Depth=1
	s_add_co_i32 s5, s5, 1
                                        ; implicit-def: $vgpr0
	s_mov_b32 s7, -1
	s_or_b32 s4, s4, exec_lo
	s_and_saveexec_b32 s10, s6
	s_cbranch_execz .LBB4_1022
	s_branch .LBB4_1021
.LBB4_1026:
	s_or_b32 exec_lo, exec_lo, s3
	s_and_saveexec_b32 s3, s0
	s_delay_alu instid0(SALU_CYCLE_1)
	s_xor_b32 s3, exec_lo, s3
	s_cbranch_execz .LBB4_1028
; %bb.1027:
	s_wait_loadcnt 0x0
	s_wait_storecnt 0x0
	ds_store_b32 v0, v0
	s_trap 2
.LBB4_1028:
	s_or_b32 exec_lo, exec_lo, s2
	v_and_b32_e32 v0, 0x2000, v30
	s_mov_b32 s0, exec_lo
	s_delay_alu instid0(VALU_DEP_1)
	v_cmpx_ne_u32_e32 0, v0
	s_cbranch_execz .LBB4_1030
; %bb.1029:
	s_trap 2
	ds_load_b64 v[2:3], v0
	s_wait_dscnt 0x0
	flat_store_b64 v[22:23], v[2:3] offset:16
.LBB4_1030:
	s_wait_xcnt 0x0
	s_or_b32 exec_lo, exec_lo, s0
	v_cmp_ne_u32_e32 vcc_lo, 32, v1
	s_and_b32 exec_lo, exec_lo, vcc_lo
	s_cbranch_execz .LBB4_1048
; %bb.1031:
	s_mov_b32 s0, exec_lo
	v_cmpx_ne_u32_e64 v1, v56
	s_xor_b32 s0, exec_lo, s0
	s_cbranch_execz .LBB4_1046
; %bb.1032:
	v_and_b32_e32 v0, 31, v31
	s_mov_b32 s2, exec_lo
	s_delay_alu instid0(VALU_DEP_1)
	v_cmpx_eq_u32_e32 0, v0
	s_cbranch_execz .LBB4_1045
; %bb.1033:
	s_mov_b32 s4, exec_lo
	s_mov_b32 s3, exec_lo
	v_mbcnt_lo_u32_b32 v0, s4, 0
	global_wb scope:SCOPE_DEV
	s_wait_storecnt 0x0
	s_wait_loadcnt_dscnt 0x0
	global_inv scope:SCOPE_DEV
	v_cmpx_eq_u32_e32 0, v0
	s_cbranch_execz .LBB4_1035
; %bb.1034:
	s_bcnt1_i32_b32 s4, s4
	s_delay_alu instid0(SALU_CYCLE_1)
	v_dual_mov_b32 v3, 0 :: v_dual_mov_b32 v2, s4
	s_wait_loadcnt 0x0
	ds_add_u64 v0, v[2:3]
	s_trap 2
.LBB4_1035:
	s_or_b32 exec_lo, exec_lo, s3
	s_trap 2
	ds_load_b64 v[2:3], v0
	s_wait_dscnt 0x0
	v_dual_mov_b32 v1, 0 :: v_dual_lshrrev_b32 v0, 5, v1
	s_mov_b32 s3, exec_lo
	s_delay_alu instid0(VALU_DEP_1) | instskip(NEXT) | instid1(VALU_DEP_1)
	v_add_nc_u64_e32 v[0:1], v[14:15], v[0:1]
	v_cmpx_lt_u64_e64 v[2:3], v[0:1]
	s_cbranch_execz .LBB4_1044
; %bb.1036:
	s_mov_b32 s4, 0
	s_mov_b32 s7, 0
                                        ; implicit-def: $sgpr5
                                        ; implicit-def: $sgpr6
	s_branch .LBB4_1038
.LBB4_1037:                             ;   in Loop: Header=BB4_1038 Depth=1
	s_or_b32 exec_lo, exec_lo, s11
	s_delay_alu instid0(SALU_CYCLE_1) | instskip(NEXT) | instid1(SALU_CYCLE_1)
	s_and_b32 s10, exec_lo, s12
	s_or_b32 s4, s10, s4
	s_and_not1_b32 s5, s5, exec_lo
	s_and_b32 s10, s6, exec_lo
	s_delay_alu instid0(SALU_CYCLE_1)
	s_or_b32 s5, s5, s10
	s_and_not1_b32 exec_lo, exec_lo, s4
	s_cbranch_execz .LBB4_1042
.LBB4_1038:                             ; =>This Inner Loop Header: Depth=1
	s_add_co_i32 s7, s7, 1
	s_delay_alu instid0(SALU_CYCLE_1) | instskip(SKIP_1) | instid1(SALU_CYCLE_1)
	s_cmp_lg_u32 s7, 0x2710
	s_cselect_b32 s10, -1, 0
	s_and_b32 vcc_lo, exec_lo, s10
	s_cbranch_vccz .LBB4_1040
; %bb.1039:                             ;   in Loop: Header=BB4_1038 Depth=1
	s_mov_b32 s12, -1
	s_or_b32 s6, s6, exec_lo
	s_and_saveexec_b32 s11, s10
	s_cbranch_execz .LBB4_1037
	s_branch .LBB4_1041
.LBB4_1040:                             ;   in Loop: Header=BB4_1038 Depth=1
	s_trap 2
	ds_load_b64 v[2:3], v0
	s_and_not1_b32 s10, s10, exec_lo
	s_mov_b32 s7, 0
	s_wait_loadcnt_dscnt 0x0
	flat_load_b32 v2, v[2:3] scope:SCOPE_SYS
	s_wait_loadcnt_dscnt 0x0
	global_inv scope:SCOPE_SYS
	v_cmp_eq_u32_e32 vcc_lo, 0, v2
	s_and_b32 s11, vcc_lo, exec_lo
	s_delay_alu instid0(SALU_CYCLE_1)
	s_or_b32 s10, s10, s11
	s_mov_b32 s12, -1
	s_or_b32 s6, s6, exec_lo
	s_and_saveexec_b32 s11, s10
	s_cbranch_execz .LBB4_1037
.LBB4_1041:                             ;   in Loop: Header=BB4_1038 Depth=1
	s_sleep 1
	s_trap 2
	ds_load_b64 v[2:3], v0
	s_wait_dscnt 0x0
	s_and_not1_b32 s6, s6, exec_lo
	v_cmp_ge_u64_e32 vcc_lo, v[2:3], v[0:1]
	s_or_not1_b32 s12, vcc_lo, exec_lo
	s_branch .LBB4_1037
.LBB4_1042:
	s_or_b32 exec_lo, exec_lo, s4
	s_and_saveexec_b32 s4, s5
	s_delay_alu instid0(SALU_CYCLE_1)
	s_xor_b32 s4, exec_lo, s4
	s_cbranch_execz .LBB4_1044
; %bb.1043:
	v_mov_b32_e32 v0, 1
	ds_store_b32 v0, v0
	s_trap 2
.LBB4_1044:
	s_or_b32 exec_lo, exec_lo, s3
	;;#ASMSTART
	s_wakeup
	;;#ASMEND
.LBB4_1045:
	s_or_b32 exec_lo, exec_lo, s2
.LBB4_1046:
	s_and_not1_saveexec_b32 s0, s0
	s_cbranch_execz .LBB4_1048
; %bb.1047:
	global_wb scope:SCOPE_DEV
	s_wait_storecnt 0x0
	s_wait_loadcnt_dscnt 0x0
	global_inv scope:SCOPE_DEV
	s_barrier_signal -1
	s_barrier_wait -1
.LBB4_1048:
	s_or_b32 exec_lo, exec_lo, s1
.LBB4_1049:
	s_and_not1_saveexec_b32 s22, s19
	s_cbranch_execz .LBB4_1051
; %bb.1050:
	s_get_pc_i64 s[0:1]
	s_add_nc_u64 s[0:1], s[0:1], __PRETTY_FUNCTION__._ZN10PrimitivesIa7FuncSumIaE12FanSymmetricILi1EELi0E11ProtoSimpleILi2ELi2ELi0ELi1ELi0ELi0EELi0ELb0ELi0ELi0ELi0EEC2EiiPKiS8_PKvPvmhhhP15ncclDevWorkCollP14ncclDevWorkP2pii@rel64+4
	s_get_pc_i64 s[2:3]
	s_add_nc_u64 s[2:3], s[2:3], __assert_fail@rel64+4
	v_dual_mov_b32 v0, s0 :: v_dual_mov_b32 v1, s1
	s_swap_pc_i64 s[30:31], s[2:3]
	; divergent unreachable
.LBB4_1051:
	s_or_b32 exec_lo, exec_lo, s22
.LBB4_1052:
	s_delay_alu instid0(SALU_CYCLE_1)
	s_or_b32 exec_lo, exec_lo, s21
	s_clause 0x1b
	scratch_load_b32 v91, off, s33
	scratch_load_b32 v90, off, s33 offset:4
	scratch_load_b32 v89, off, s33 offset:8
	;; [unrolled: 1-line block ×27, first 2 shown]
	v_readlane_b32 s30, v92, 0
	v_readlane_b32 s31, v92, 1
	s_mov_b32 s32, s33
	s_wait_xcnt 0x0
	s_or_saveexec_b32 s0, -1
	scratch_load_b32 v92, off, s33 offset:112 ; 4-byte Folded Reload
	s_wait_xcnt 0x0
	s_mov_b32 exec_lo, s0
	s_mov_b32 s33, s59
	s_wait_loadcnt_dscnt 0x0
	s_set_pc_i64 s[30:31]
.Lfunc_end4:
	.size	_ZN12_GLOBAL__N_17runRingIa7FuncSumIaE11ProtoSimpleILi2ELi2ELi0ELi1ELi0ELi0EELi0ELi1ELi0ELb0EEEviiP15ncclDevWorkColl, .Lfunc_end4-_ZN12_GLOBAL__N_17runRingIa7FuncSumIaE11ProtoSimpleILi2ELi2ELi0ELi1ELi0ELi0EELi0ELi1ELi0ELb0EEEviiP15ncclDevWorkColl
                                        ; -- End function
	.set .L_ZN12_GLOBAL__N_17runRingIa7FuncSumIaE11ProtoSimpleILi2ELi2ELi0ELi1ELi0ELi0EELi0ELi1ELi0ELb0EEEviiP15ncclDevWorkColl.num_vgpr, max(120, .L__assert_fail.num_vgpr)
	.set .L_ZN12_GLOBAL__N_17runRingIa7FuncSumIaE11ProtoSimpleILi2ELi2ELi0ELi1ELi0ELi0EELi0ELi1ELi0ELb0EEEviiP15ncclDevWorkColl.num_agpr, max(0, .L__assert_fail.num_agpr)
	.set .L_ZN12_GLOBAL__N_17runRingIa7FuncSumIaE11ProtoSimpleILi2ELi2ELi0ELi1ELi0ELi0EELi0ELi1ELi0ELb0EEEviiP15ncclDevWorkColl.numbered_sgpr, max(60, .L__assert_fail.numbered_sgpr)
	.set .L_ZN12_GLOBAL__N_17runRingIa7FuncSumIaE11ProtoSimpleILi2ELi2ELi0ELi1ELi0ELi0EELi0ELi1ELi0ELb0EEEviiP15ncclDevWorkColl.num_named_barrier, max(0, .L__assert_fail.num_named_barrier)
	.set .L_ZN12_GLOBAL__N_17runRingIa7FuncSumIaE11ProtoSimpleILi2ELi2ELi0ELi1ELi0ELi0EELi0ELi1ELi0ELb0EEEviiP15ncclDevWorkColl.private_seg_size, 128+max(.L__assert_fail.private_seg_size)
	.set .L_ZN12_GLOBAL__N_17runRingIa7FuncSumIaE11ProtoSimpleILi2ELi2ELi0ELi1ELi0ELi0EELi0ELi1ELi0ELb0EEEviiP15ncclDevWorkColl.uses_vcc, or(1, .L__assert_fail.uses_vcc)
	.set .L_ZN12_GLOBAL__N_17runRingIa7FuncSumIaE11ProtoSimpleILi2ELi2ELi0ELi1ELi0ELi0EELi0ELi1ELi0ELb0EEEviiP15ncclDevWorkColl.uses_flat_scratch, or(1, .L__assert_fail.uses_flat_scratch)
	.set .L_ZN12_GLOBAL__N_17runRingIa7FuncSumIaE11ProtoSimpleILi2ELi2ELi0ELi1ELi0ELi0EELi0ELi1ELi0ELb0EEEviiP15ncclDevWorkColl.has_dyn_sized_stack, or(0, .L__assert_fail.has_dyn_sized_stack)
	.set .L_ZN12_GLOBAL__N_17runRingIa7FuncSumIaE11ProtoSimpleILi2ELi2ELi0ELi1ELi0ELi0EELi0ELi1ELi0ELb0EEEviiP15ncclDevWorkColl.has_recursion, or(1, .L__assert_fail.has_recursion)
	.set .L_ZN12_GLOBAL__N_17runRingIa7FuncSumIaE11ProtoSimpleILi2ELi2ELi0ELi1ELi0ELi0EELi0ELi1ELi0ELb0EEEviiP15ncclDevWorkColl.has_indirect_call, or(0, .L__assert_fail.has_indirect_call)
	.section	.AMDGPU.csdata,"",@progbits
; Function info:
; codeLenInByte = 35232
; TotalNumSgprs: 62
; NumVgprs: 120
; ScratchSize: 192
; MemoryBound: 0
	.text
	.p2align	2                               ; -- Begin function _Z46ncclDevFunc_AllGather_RING_SIMPLE_Sum_i8_0_0_1v
	.type	_Z46ncclDevFunc_AllGather_RING_SIMPLE_Sum_i8_0_0_1v,@function
_Z46ncclDevFunc_AllGather_RING_SIMPLE_Sum_i8_0_0_1v: ; @_Z46ncclDevFunc_AllGather_RING_SIMPLE_Sum_i8_0_0_1v
; %bb.0:
	s_wait_loadcnt_dscnt 0x0
	s_wait_kmcnt 0x0
	s_mov_b32 s75, s33
	s_mov_b32 s33, s32
	s_or_saveexec_b32 s0, -1
	scratch_store_b32 off, v42, s33 offset:12 ; 4-byte Folded Spill
	s_wait_xcnt 0x0
	s_mov_b32 exec_lo, s0
	s_add_co_i32 s32, s32, 32
	s_clause 0x2
	scratch_store_b32 off, v40, s33 offset:8
	; meta instruction
	scratch_store_b32 off, v41, s33 offset:4
	; meta instruction
	scratch_store_b32 off, v92, s33
	v_writelane_b32 v42, s30, 0
	v_writelane_b32 v42, s31, 1
	s_trap 2
	ds_load_b32 v0, v0
	s_wait_xcnt 0x2
	v_mov_b32_e32 v40, v31
	s_wait_dscnt 0x0
	v_cmp_gt_i32_e32 vcc_lo, 1, v0
	s_cbranch_vccnz .LBB5_8
; %bb.1:
	s_wait_xcnt 0x1
	v_and_b32_e32 v41, 0x3ff, v40
	s_mov_b32 s62, s12
	s_mov_b64 s[60:61], s[8:9]
	s_mov_b32 s63, 0
	s_get_pc_i64 s[72:73]
	s_add_nc_u64 s[72:73], s[72:73], _ZN12_GLOBAL__N_17runRingIa7FuncSumIaE11ProtoSimpleILi2ELi2ELi0ELi1ELi0ELi0EELi0ELi1ELi0ELb0EEEviiP15ncclDevWorkColl@rel64+4
	s_branch .LBB5_3
.LBB5_2:                                ;   in Loop: Header=BB5_3 Depth=1
	s_or_b32 exec_lo, exec_lo, s74
	s_trap 2
	ds_load_b32 v0, v0
	s_add_co_i32 s63, s63, 1
	s_wait_dscnt 0x0
	v_cmp_lt_i32_e32 vcc_lo, s63, v0
	s_cbranch_vccz .LBB5_8
.LBB5_3:                                ; =>This Inner Loop Header: Depth=1
	s_trap 2
	ds_load_b32 v0, v0
	s_cmp_eq_u32 s63, 0
	s_cbranch_scc1 .LBB5_6
; %bb.4:                                ;   in Loop: Header=BB5_3 Depth=1
	s_trap 2
	s_wait_dscnt 0x0
	ds_load_b32 v1, v0
	s_wait_dscnt 0x0
	v_xor_b32_e32 v1, v1, v0
	s_delay_alu instid0(VALU_DEP_1) | instskip(NEXT) | instid1(VALU_DEP_1)
	v_and_b32_e32 v1, 0xff0000, v1
	v_cmp_eq_u32_e32 vcc_lo, 0, v1
	s_cbranch_vccnz .LBB5_6
; %bb.5:                                ;   in Loop: Header=BB5_3 Depth=1
	s_wait_storecnt 0x0
	s_barrier_signal -1
	s_barrier_wait -1
	ds_load_b32 v0, v0
.LBB5_6:                                ;   in Loop: Header=BB5_3 Depth=1
	s_wait_dscnt 0x0
	v_lshrrev_b32_e32 v0, 11, v0
	s_mov_b32 s74, exec_lo
	s_delay_alu instid0(VALU_DEP_1) | instskip(SKIP_1) | instid1(VALU_DEP_1)
	v_and_b32_e32 v1, 0x1fe0, v0
	s_wait_xcnt 0x0
	v_cmpx_lt_u32_e64 v41, v1
	s_cbranch_execz .LBB5_2
; %bb.7:                                ;   in Loop: Header=BB5_3 Depth=1
	s_mov_b64 s[0:1], src_shared_base
	v_dual_mov_b32 v31, v40 :: v_dual_mov_b32 v0, v41
	v_mov_b32_e32 v3, s1
	s_mov_b64 s[8:9], s[60:61]
	s_mov_b32 s12, s62
	s_swap_pc_i64 s[30:31], s[72:73]
	s_branch .LBB5_2
.LBB5_8:
	s_clause 0x2
	scratch_load_b32 v92, off, s33
	scratch_load_b32 v41, off, s33 offset:4
	scratch_load_b32 v40, off, s33 offset:8
	v_readlane_b32 s30, v42, 0
	v_readlane_b32 s31, v42, 1
	s_mov_b32 s32, s33
	s_wait_xcnt 0x0
	s_or_saveexec_b32 s0, -1
	scratch_load_b32 v42, off, s33 offset:12 ; 4-byte Folded Reload
	s_wait_xcnt 0x0
	s_mov_b32 exec_lo, s0
	s_mov_b32 s33, s75
	s_wait_loadcnt 0x0
	s_set_pc_i64 s[30:31]
.Lfunc_end5:
	.size	_Z46ncclDevFunc_AllGather_RING_SIMPLE_Sum_i8_0_0_1v, .Lfunc_end5-_Z46ncclDevFunc_AllGather_RING_SIMPLE_Sum_i8_0_0_1v
                                        ; -- End function
	.set .L_Z46ncclDevFunc_AllGather_RING_SIMPLE_Sum_i8_0_0_1v.num_vgpr, max(93, .L_ZN12_GLOBAL__N_17runRingIa7FuncSumIaE11ProtoSimpleILi2ELi2ELi0ELi1ELi0ELi0EELi0ELi1ELi0ELb0EEEviiP15ncclDevWorkColl.num_vgpr)
	.set .L_Z46ncclDevFunc_AllGather_RING_SIMPLE_Sum_i8_0_0_1v.num_agpr, max(0, .L_ZN12_GLOBAL__N_17runRingIa7FuncSumIaE11ProtoSimpleILi2ELi2ELi0ELi1ELi0ELi0EELi0ELi1ELi0ELb0EEEviiP15ncclDevWorkColl.num_agpr)
	.set .L_Z46ncclDevFunc_AllGather_RING_SIMPLE_Sum_i8_0_0_1v.numbered_sgpr, max(76, .L_ZN12_GLOBAL__N_17runRingIa7FuncSumIaE11ProtoSimpleILi2ELi2ELi0ELi1ELi0ELi0EELi0ELi1ELi0ELb0EEEviiP15ncclDevWorkColl.numbered_sgpr)
	.set .L_Z46ncclDevFunc_AllGather_RING_SIMPLE_Sum_i8_0_0_1v.num_named_barrier, max(0, .L_ZN12_GLOBAL__N_17runRingIa7FuncSumIaE11ProtoSimpleILi2ELi2ELi0ELi1ELi0ELi0EELi0ELi1ELi0ELb0EEEviiP15ncclDevWorkColl.num_named_barrier)
	.set .L_Z46ncclDevFunc_AllGather_RING_SIMPLE_Sum_i8_0_0_1v.private_seg_size, 32+max(.L_ZN12_GLOBAL__N_17runRingIa7FuncSumIaE11ProtoSimpleILi2ELi2ELi0ELi1ELi0ELi0EELi0ELi1ELi0ELb0EEEviiP15ncclDevWorkColl.private_seg_size)
	.set .L_Z46ncclDevFunc_AllGather_RING_SIMPLE_Sum_i8_0_0_1v.uses_vcc, or(1, .L_ZN12_GLOBAL__N_17runRingIa7FuncSumIaE11ProtoSimpleILi2ELi2ELi0ELi1ELi0ELi0EELi0ELi1ELi0ELb0EEEviiP15ncclDevWorkColl.uses_vcc)
	.set .L_Z46ncclDevFunc_AllGather_RING_SIMPLE_Sum_i8_0_0_1v.uses_flat_scratch, or(1, .L_ZN12_GLOBAL__N_17runRingIa7FuncSumIaE11ProtoSimpleILi2ELi2ELi0ELi1ELi0ELi0EELi0ELi1ELi0ELb0EEEviiP15ncclDevWorkColl.uses_flat_scratch)
	.set .L_Z46ncclDevFunc_AllGather_RING_SIMPLE_Sum_i8_0_0_1v.has_dyn_sized_stack, or(0, .L_ZN12_GLOBAL__N_17runRingIa7FuncSumIaE11ProtoSimpleILi2ELi2ELi0ELi1ELi0ELi0EELi0ELi1ELi0ELb0EEEviiP15ncclDevWorkColl.has_dyn_sized_stack)
	.set .L_Z46ncclDevFunc_AllGather_RING_SIMPLE_Sum_i8_0_0_1v.has_recursion, or(1, .L_ZN12_GLOBAL__N_17runRingIa7FuncSumIaE11ProtoSimpleILi2ELi2ELi0ELi1ELi0ELi0EELi0ELi1ELi0ELb0EEEviiP15ncclDevWorkColl.has_recursion)
	.set .L_Z46ncclDevFunc_AllGather_RING_SIMPLE_Sum_i8_0_0_1v.has_indirect_call, or(0, .L_ZN12_GLOBAL__N_17runRingIa7FuncSumIaE11ProtoSimpleILi2ELi2ELi0ELi1ELi0ELi0EELi0ELi1ELi0ELb0EEEviiP15ncclDevWorkColl.has_indirect_call)
	.section	.AMDGPU.csdata,"",@progbits
; Function info:
; codeLenInByte = 464
; TotalNumSgprs: 78
; NumVgprs: 120
; ScratchSize: 224
; MemoryBound: 0
	.text
	.p2align	2                               ; -- Begin function _Z41ncclDevFunc_AllGather_PAT_LL_Sum_i8_0_0_1v
	.type	_Z41ncclDevFunc_AllGather_PAT_LL_Sum_i8_0_0_1v,@function
_Z41ncclDevFunc_AllGather_PAT_LL_Sum_i8_0_0_1v: ; @_Z41ncclDevFunc_AllGather_PAT_LL_Sum_i8_0_0_1v
; %bb.0:
	s_wait_loadcnt_dscnt 0x0
	s_wait_kmcnt 0x0
	s_trap 2
	ds_load_b32 v0, v0
	s_wait_dscnt 0x0
	v_cmp_gt_i32_e32 vcc_lo, 1, v0
	s_cbranch_vccnz .LBB6_6
; %bb.1:
	s_mov_b32 s0, 0
	s_branch .LBB6_3
.LBB6_2:                                ;   in Loop: Header=BB6_3 Depth=1
	s_add_co_i32 s0, s0, 1
	s_wait_dscnt 0x0
	v_cmp_lt_i32_e32 vcc_lo, s0, v0
	s_cbranch_vccz .LBB6_6
.LBB6_3:                                ; =>This Inner Loop Header: Depth=1
	s_cmp_eq_u32 s0, 0
	s_cbranch_scc1 .LBB6_2
; %bb.4:                                ;   in Loop: Header=BB6_3 Depth=1
	s_trap 2
	ds_load_b32 v1, v0
	s_wait_dscnt 0x0
	v_xor_b32_e32 v1, v1, v1
	s_delay_alu instid0(VALU_DEP_1) | instskip(NEXT) | instid1(VALU_DEP_1)
	v_and_b32_e32 v1, 0xff0000, v1
	v_cmp_eq_u32_e32 vcc_lo, 0, v1
	s_cbranch_vccnz .LBB6_2
; %bb.5:                                ;   in Loop: Header=BB6_3 Depth=1
	s_wait_storecnt 0x0
	s_barrier_signal -1
	s_barrier_wait -1
	s_trap 2
	ds_load_b32 v0, v0
	s_branch .LBB6_2
.LBB6_6:
	s_set_pc_i64 s[30:31]
.Lfunc_end6:
	.size	_Z41ncclDevFunc_AllGather_PAT_LL_Sum_i8_0_0_1v, .Lfunc_end6-_Z41ncclDevFunc_AllGather_PAT_LL_Sum_i8_0_0_1v
                                        ; -- End function
	.set .L_Z41ncclDevFunc_AllGather_PAT_LL_Sum_i8_0_0_1v.num_vgpr, 2
	.set .L_Z41ncclDevFunc_AllGather_PAT_LL_Sum_i8_0_0_1v.num_agpr, 0
	.set .L_Z41ncclDevFunc_AllGather_PAT_LL_Sum_i8_0_0_1v.numbered_sgpr, 32
	.set .L_Z41ncclDevFunc_AllGather_PAT_LL_Sum_i8_0_0_1v.num_named_barrier, 0
	.set .L_Z41ncclDevFunc_AllGather_PAT_LL_Sum_i8_0_0_1v.private_seg_size, 0
	.set .L_Z41ncclDevFunc_AllGather_PAT_LL_Sum_i8_0_0_1v.uses_vcc, 1
	.set .L_Z41ncclDevFunc_AllGather_PAT_LL_Sum_i8_0_0_1v.uses_flat_scratch, 0
	.set .L_Z41ncclDevFunc_AllGather_PAT_LL_Sum_i8_0_0_1v.has_dyn_sized_stack, 0
	.set .L_Z41ncclDevFunc_AllGather_PAT_LL_Sum_i8_0_0_1v.has_recursion, 0
	.set .L_Z41ncclDevFunc_AllGather_PAT_LL_Sum_i8_0_0_1v.has_indirect_call, 0
	.section	.AMDGPU.csdata,"",@progbits
; Function info:
; codeLenInByte = 136
; TotalNumSgprs: 34
; NumVgprs: 2
; ScratchSize: 0
; MemoryBound: 0
	.text
	.p2align	2                               ; -- Begin function _Z45ncclDevFunc_AllGather_PAT_SIMPLE_Sum_i8_0_0_1v
	.type	_Z45ncclDevFunc_AllGather_PAT_SIMPLE_Sum_i8_0_0_1v,@function
_Z45ncclDevFunc_AllGather_PAT_SIMPLE_Sum_i8_0_0_1v: ; @_Z45ncclDevFunc_AllGather_PAT_SIMPLE_Sum_i8_0_0_1v
; %bb.0:
	s_wait_loadcnt_dscnt 0x0
	s_wait_kmcnt 0x0
	s_trap 2
	ds_load_b32 v0, v0
	s_wait_dscnt 0x0
	v_cmp_gt_i32_e32 vcc_lo, 1, v0
	s_cbranch_vccnz .LBB7_394
; %bb.1:
	s_load_b32 s1, s[8:9], 0x0
	s_bfe_u32 s0, ttmp6, 0x4000c
	s_and_b32 s2, ttmp6, 15
	s_add_co_i32 s0, s0, 1
	s_getreg_b32 s3, hwreg(HW_REG_IB_STS2, 6, 4)
	s_mul_i32 s0, ttmp9, s0
	s_mov_b32 s13, 0
	s_add_co_i32 s2, s2, s0
	s_cmp_eq_u32 s3, 0
	v_and_b32_e32 v68, 0x3ff, v31
	s_cselect_b32 s2, ttmp9, s2
	v_dual_mov_b32 v10, 0 :: v_dual_bitop2_b32 v0, 31, v31 bitop3:0x40
	v_mov_b64_e32 v[12:13], 0x68
	v_mov_b64_e32 v[14:15], 1
	;; [unrolled: 1-line block ×6, first 2 shown]
	v_cmp_gt_u32_e64 s0, 32, v68
	s_wait_kmcnt 0x0
	s_cmp_lt_u32 s2, s1
	v_cmp_eq_u32_e64 s1, 0, v68
	s_cselect_b32 s12, 12, 18
	v_cmp_eq_u32_e64 s2, 0x80, v68
	s_add_nc_u64 s[4:5], s[8:9], s[12:13]
	v_cmp_ne_u32_e64 s3, 0x80, v68
	s_load_u16 s16, s[4:5], 0x0
	s_wait_xcnt 0x0
	v_cmp_gt_u32_e64 s4, 0x80, v68
	v_cmp_eq_u32_e64 s5, 0, v0
	v_cvt_f32_i32_e32 v69, v68
	v_dual_mov_b32 v70, 1 :: v_dual_mov_b32 v71, -1
	v_dual_mov_b32 v80, 2 :: v_dual_mov_b32 v81, 0x7ffffff0
	v_mov_b32_e32 v82, 0x318
	s_add_co_i32 s17, s32, 0xd8
	s_addk_co_i32 s18, 0x700
	s_get_pc_i64 s[14:15]
	s_add_nc_u64 s[14:15], s[14:15], __const.Primitives.roles@rel64+4
	s_trap 2
	s_branch .LBB7_4
.LBB7_2:                                ;   in Loop: Header=BB7_4 Depth=1
	s_or_b32 exec_lo, exec_lo, s10
.LBB7_3:                                ;   in Loop: Header=BB7_4 Depth=1
	s_delay_alu instid0(SALU_CYCLE_1)
	s_or_b32 exec_lo, exec_lo, s19
	s_trap 2
	ds_load_b32 v0, v0
	s_add_co_i32 s13, s13, 1
	s_wait_dscnt 0x0
	v_cmp_lt_i32_e32 vcc_lo, s13, v0
	s_cbranch_vccz .LBB7_394
.LBB7_4:                                ; =>This Loop Header: Depth=1
                                        ;     Child Loop BB7_18 Depth 2
                                        ;     Child Loop BB7_26 Depth 2
	;; [unrolled: 1-line block ×4, first 2 shown]
                                        ;       Child Loop BB7_54 Depth 3
                                        ;       Child Loop BB7_86 Depth 3
	;; [unrolled: 1-line block ×12, first 2 shown]
                                        ;     Child Loop BB7_236 Depth 2
                                        ;     Child Loop BB7_248 Depth 2
	;; [unrolled: 1-line block ×7, first 2 shown]
                                        ;       Child Loop BB7_295 Depth 3
                                        ;       Child Loop BB7_354 Depth 3
	;; [unrolled: 1-line block ×5, first 2 shown]
	s_trap 2
	ds_load_b32 v0, v0
	s_cmp_eq_u32 s13, 0
	s_wait_dscnt 0x0
	v_readfirstlane_b32 s7, v0
	s_cbranch_scc1 .LBB7_7
; %bb.5:                                ;   in Loop: Header=BB7_4 Depth=1
	s_trap 2
	ds_load_b32 v0, v0
	s_wait_dscnt 0x0
	v_xor_b32_e32 v0, s7, v0
	s_delay_alu instid0(VALU_DEP_1) | instskip(NEXT) | instid1(VALU_DEP_1)
	v_and_b32_e32 v0, 0xff0000, v0
	v_cmp_eq_u32_e32 vcc_lo, 0, v0
	s_cbranch_vccnz .LBB7_7
; %bb.6:                                ;   in Loop: Header=BB7_4 Depth=1
	s_wait_storecnt 0x0
	s_barrier_signal -1
	s_barrier_wait -1
	s_trap 2
	ds_load_b32 v0, v0
	s_wait_dscnt 0x0
	v_readfirstlane_b32 s7, v0
.LBB7_7:                                ;   in Loop: Header=BB7_4 Depth=1
	s_delay_alu instid0(VALU_DEP_1) | instskip(SKIP_2) | instid1(SALU_CYCLE_1)
	s_lshr_b32 s6, s7, 11
	s_mov_b32 s19, exec_lo
	s_and_b32 s6, s6, 0x1fe0
	v_cmpx_gt_u32_e64 s6, v68
	s_cbranch_execz .LBB7_3
; %bb.8:                                ;   in Loop: Header=BB7_4 Depth=1
	s_trap 2
	ds_load_2addr_b64 v[0:3], v0 offset1:1
	s_and_b32 s12, s7, 0xff
	s_bfe_u32 s9, s7, 0x80008
	s_not_b32 s8, s12
	s_wait_dscnt 0x0
	ds_load_b32 v4, v0
	ds_load_b64 v[6:7], v0
	s_add_co_i32 s10, s9, s8
	s_delay_alu instid0(SALU_CYCLE_1) | instskip(NEXT) | instid1(SALU_CYCLE_1)
	s_ashr_i32 s11, s10, 31
	v_mul_u64_e32 v[8:9], s[10:11], v[2:3]
	s_wait_dscnt 0x1
	v_cmp_ne_u32_e32 vcc_lo, s12, v4
	s_wait_dscnt 0x0
	v_readfirstlane_b32 s21, v6
	v_readfirstlane_b32 s20, v7
	s_delay_alu instid0(VALU_DEP_4)
	v_add_nc_u64_e32 v[8:9], v[8:9], v[0:1]
	s_cbranch_vccz .LBB7_11
; %bb.9:                                ;   in Loop: Header=BB7_4 Depth=1
	v_cmp_ne_u32_e32 vcc_lo, s9, v4
	s_cbranch_vccz .LBB7_12
; %bb.10:                               ;   in Loop: Header=BB7_4 Depth=1
	v_add_nc_u32_e32 v4, s8, v4
	s_trap 2
	ds_load_b64 v[24:25], v0
	v_ashrrev_i32_e32 v5, 31, v4
	s_delay_alu instid0(VALU_DEP_1) | instskip(SKIP_2) | instid1(VALU_DEP_2)
	v_mul_u64_e32 v[4:5], v[2:3], v[4:5]
	s_wait_dscnt 0x0
	v_lshrrev_b64 v[24:25], 12, v[24:25]
	v_add_nc_u64_e32 v[4:5], v[4:5], v[0:1]
	s_cbranch_execz .LBB7_13
	s_branch .LBB7_14
.LBB7_11:                               ;   in Loop: Header=BB7_4 Depth=1
                                        ; implicit-def: $vgpr24_vgpr25
                                        ; implicit-def: $vgpr4_vgpr5
	s_branch .LBB7_15
.LBB7_12:                               ;   in Loop: Header=BB7_4 Depth=1
                                        ; implicit-def: $vgpr24_vgpr25
                                        ; implicit-def: $vgpr4_vgpr5
.LBB7_13:                               ;   in Loop: Header=BB7_4 Depth=1
	s_trap 2
	ds_load_b32 v2, v0
	v_mov_b64_e32 v[4:5], v[8:9]
	s_wait_dscnt 0x0
	v_lshrrev_b32_e32 v24, 1, v2
	v_mov_b64_e32 v[2:3], v[6:7]
.LBB7_14:                               ;   in Loop: Header=BB7_4 Depth=1
	s_cbranch_execnz .LBB7_16
.LBB7_15:                               ;   in Loop: Header=BB7_4 Depth=1
	s_trap 2
	ds_load_b64 v[2:3], v0
	v_mov_b64_e32 v[4:5], 0
	s_wait_dscnt 0x0
	v_lshlrev_b64_e32 v[24:25], 9, v[2:3]
	v_mov_b64_e32 v[2:3], v[0:1]
.LBB7_16:                               ;   in Loop: Header=BB7_4 Depth=1
	s_wait_storecnt 0x0
	s_barrier_signal -1
	s_barrier_wait -1
	s_and_saveexec_b32 s8, s0
	s_cbranch_execz .LBB7_19
; %bb.17:                               ;   in Loop: Header=BB7_4 Depth=1
	v_mov_b32_e32 v0, v68
	s_bfe_u32 s7, s7, 0x80010
	s_mov_b32 s9, 0
	s_mulk_i32 s7, 0x700
                                        ; implicit-def: $vgpr1
.LBB7_18:                               ;   Parent Loop BB7_4 Depth=1
                                        ; =>  This Inner Loop Header: Depth=2
	s_delay_alu instid0(VALU_DEP_1) | instskip(SKIP_4) | instid1(SALU_CYCLE_1)
	v_add_nc_u32_e32 v0, s6, v0
	ds_store_b32 v1, v10
	v_add_nc_u32_e32 v1, s7, v1
	v_cmp_lt_u32_e32 vcc_lo, 31, v0
	s_or_b32 s9, vcc_lo, s9
	s_and_not1_b32 exec_lo, exec_lo, s9
	s_cbranch_execnz .LBB7_18
.LBB7_19:                               ;   in Loop: Header=BB7_4 Depth=1
	s_or_b32 exec_lo, exec_lo, s8
	s_and_saveexec_b32 s6, s1
	s_cbranch_execz .LBB7_21
; %bb.20:                               ;   in Loop: Header=BB7_4 Depth=1
	ds_store_b64 v0, v[16:17]
	s_trap 2
.LBB7_21:                               ;   in Loop: Header=BB7_4 Depth=1
	s_or_b32 exec_lo, exec_lo, s6
	s_and_saveexec_b32 s6, s2
	s_cbranch_execz .LBB7_23
; %bb.22:                               ;   in Loop: Header=BB7_4 Depth=1
	ds_store_b32 v0, v10
	s_trap 2
.LBB7_23:                               ;   in Loop: Header=BB7_4 Depth=1
	s_or_b32 exec_lo, exec_lo, s6
	s_wait_dscnt 0x0
	s_barrier_signal -1
	s_barrier_wait -1
	s_and_saveexec_b32 s6, s3
	s_delay_alu instid0(SALU_CYCLE_1)
	s_xor_b32 s22, exec_lo, s6
	s_cbranch_execz .LBB7_259
; %bb.24:                               ;   in Loop: Header=BB7_4 Depth=1
	s_and_saveexec_b32 s23, s4
	s_cbranch_execz .LBB7_258
; %bb.25:                               ;   in Loop: Header=BB7_4 Depth=1
	s_trap 2
	ds_load_b128 v[0:3], v0
	s_mov_b32 s6, 0
.LBB7_26:                               ;   Parent Loop BB7_4 Depth=1
                                        ; =>  This Inner Loop Header: Depth=2
	s_mov_b64 s[8:9], src_shared_base
	s_cmp_lg_u32 s18, -1
	s_cselect_b32 s8, s18, 0
	s_cselect_b32 s9, s9, 0
	flat_load_b32 v4, v10, s[8:9] scope:SCOPE_SYS
	s_wait_loadcnt 0x0
	s_trap 2
	s_wait_dscnt 0x0
	v_cmp_ne_u32_e32 vcc_lo, 0, v4
	s_or_b32 s6, vcc_lo, s6
	s_wait_xcnt 0x0
	s_and_not1_b32 exec_lo, exec_lo, s6
	s_cbranch_execnz .LBB7_26
; %bb.27:                               ;   in Loop: Header=BB7_4 Depth=1
	s_or_b32 exec_lo, exec_lo, s6
	v_lshlrev_b32_e32 v4, 5, v4
	s_trap 2
	s_mov_b32 s6, exec_lo
	v_mov_b32_e32 v11, 0x800
	s_delay_alu instid0(VALU_DEP_2) | instskip(NEXT) | instid1(VALU_DEP_1)
	v_sub_nc_u32_e32 v5, 0, v4
	v_max_i32_e32 v5, v4, v5
	s_delay_alu instid0(VALU_DEP_1) | instskip(SKIP_1) | instid1(VALU_DEP_2)
	v_cvt_f32_u32_e32 v6, v5
	v_dual_sub_nc_u32 v7, 0, v5 :: v_dual_ashrrev_i32 v4, 31, v4
	v_rcp_iflag_f32_e32 v6, v6
	v_nop
	s_delay_alu instid0(TRANS32_DEP_1) | instskip(NEXT) | instid1(VALU_DEP_1)
	v_mul_f32_e32 v6, 0x4f7ffffe, v6
	v_cvt_u32_f32_e32 v6, v6
	s_delay_alu instid0(VALU_DEP_1) | instskip(NEXT) | instid1(VALU_DEP_1)
	v_mul_lo_u32 v7, v7, v6
	v_mul_hi_u32 v7, v6, v7
	s_delay_alu instid0(VALU_DEP_1) | instskip(NEXT) | instid1(VALU_DEP_1)
	v_add_nc_u32_e32 v6, v6, v7
	v_lshrrev_b32_e32 v6, 25, v6
	s_delay_alu instid0(VALU_DEP_1) | instskip(NEXT) | instid1(VALU_DEP_1)
	v_mul_lo_u32 v7, v6, v5
	v_sub_nc_u32_e32 v7, 0x80, v7
	s_delay_alu instid0(VALU_DEP_1) | instskip(SKIP_2) | instid1(VALU_DEP_1)
	v_sub_nc_u32_e32 v9, v7, v5
	v_cmp_ge_u32_e32 vcc_lo, v7, v5
	v_add_nc_u32_e32 v8, 1, v6
	v_dual_cndmask_b32 v6, v6, v8 :: v_dual_cndmask_b32 v7, v7, v9
	s_delay_alu instid0(VALU_DEP_1) | instskip(NEXT) | instid1(VALU_DEP_2)
	v_add_nc_u32_e32 v8, 1, v6
	v_cmp_ge_u32_e32 vcc_lo, v7, v5
	s_delay_alu instid0(VALU_DEP_2) | instskip(NEXT) | instid1(VALU_DEP_1)
	v_cndmask_b32_e32 v5, v6, v8, vcc_lo
	v_xor_b32_e32 v5, v5, v4
	s_delay_alu instid0(VALU_DEP_1) | instskip(NEXT) | instid1(VALU_DEP_1)
	v_sub_nc_u32_e32 v24, v5, v4
	v_bfe_i32 v5, v24, 25, 2
	s_delay_alu instid0(VALU_DEP_1) | instskip(NEXT) | instid1(VALU_DEP_1)
	v_dual_lshlrev_b32 v26, 5, v24 :: v_dual_bitop2_b32 v5, 1, v5 bitop3:0x54
	v_cvt_f32_i32_e32 v7, v26
	s_delay_alu instid0(VALU_DEP_1) | instskip(SKIP_1) | instid1(TRANS32_DEP_1)
	v_rcp_iflag_f32_e32 v8, v7
	v_nop
	v_mul_f32_e32 v4, v69, v8
	s_delay_alu instid0(VALU_DEP_1) | instskip(NEXT) | instid1(VALU_DEP_1)
	v_trunc_f32_e32 v4, v4
	v_fma_f32 v6, -v4, v7, v69
	v_cvt_i32_f32_e32 v4, v4
	s_delay_alu instid0(VALU_DEP_2) | instskip(SKIP_1) | instid1(VALU_DEP_1)
	v_cmp_ge_f32_e64 vcc_lo, |v6|, |v7|
	v_cndmask_b32_e32 v5, 0, v5, vcc_lo
	v_add_nc_u32_e32 v4, v4, v5
	s_delay_alu instid0(VALU_DEP_1) | instskip(SKIP_2) | instid1(VALU_DEP_1)
	v_bfe_i32 v25, v4, 0, 16
	ds_load_b64 v[4:5], v0
	v_mul_lo_u32 v6, v26, v25
	v_sub_nc_u32_e32 v83, v68, v6
	s_delay_alu instid0(VALU_DEP_1)
	v_cmpx_gt_i32_e32 5, v83
	s_cbranch_execz .LBB7_29
; %bb.28:                               ;   in Loop: Header=BB7_4 Depth=1
	global_load_b32 v9, v83, s[14:15] scale_offset
	s_wait_loadcnt 0x0
	v_or_b32_e32 v11, 0x800, v9
.LBB7_29:                               ;   in Loop: Header=BB7_4 Depth=1
	s_or_b32 exec_lo, exec_lo, s6
	ds_load_b32 v28, v0
	v_lshlrev_b64_e64 v[30:31], v83, 1
	v_cmp_gt_i32_e64 s6, 32, v83
	s_trap 2
	s_wait_dscnt 0x0
	v_ashrrev_i32_e32 v29, 31, v28
	v_readfirstlane_b32 s7, v28
	s_delay_alu instid0(VALU_DEP_2) | instskip(SKIP_1) | instid1(SALU_CYCLE_1)
	v_cmp_lt_u64_e32 vcc_lo, v[30:31], v[28:29]
	s_and_b32 s8, s6, vcc_lo
	s_and_saveexec_b32 s6, s8
	s_cbranch_execz .LBB7_31
; %bb.30:                               ;   in Loop: Header=BB7_4 Depth=1
	s_cvt_f32_u32 s8, s7
	ds_load_b32 v27, v0
	s_sub_co_i32 s9, 0, s7
	s_trap 2
	v_rcp_iflag_f32_e32 v9, s8
	v_nop
	s_delay_alu instid0(TRANS32_DEP_1) | instskip(SKIP_2) | instid1(SALU_CYCLE_3)
	v_readfirstlane_b32 s8, v9
	v_lshlrev_b32_e64 v9, v83, 1
	s_mul_f32 s8, s8, 0x4f7ffffe
	s_cvt_u32_f32 s8, s8
	s_wait_dscnt 0x0
	s_delay_alu instid0(VALU_DEP_1) | instskip(NEXT) | instid1(SALU_CYCLE_1)
	v_dual_add_nc_u32 v30, v27, v9 :: v_dual_sub_nc_u32 v9, s7, v9
	s_mul_i32 s9, s9, s8
	s_delay_alu instid0(SALU_CYCLE_1) | instskip(NEXT) | instid1(VALU_DEP_1)
	s_mul_hi_u32 s9, s8, s9
	v_add_nc_u32_e32 v9, v9, v27
	s_add_co_i32 s10, s8, s9
	s_delay_alu instid0(SALU_CYCLE_1) | instskip(NEXT) | instid1(VALU_DEP_1)
	v_mul_hi_u32 v28, v30, s10
	v_mul_lo_u32 v31, v28, s7
	ds_load_b64 v[28:29], v0
	v_sub_nc_u32_e32 v30, v30, v31
	s_delay_alu instid0(VALU_DEP_1) | instskip(SKIP_3) | instid1(VALU_DEP_3)
	v_subrev_nc_u32_e32 v31, s7, v30
	v_cmp_le_u32_e32 vcc_lo, s7, v30
	s_wait_dscnt 0x0
	v_readfirstlane_b32 s8, v28
	v_cndmask_b32_e32 v30, v30, v31, vcc_lo
	v_readfirstlane_b32 s9, v29
	s_delay_alu instid0(VALU_DEP_2) | instskip(SKIP_1) | instid1(VALU_DEP_2)
	v_subrev_nc_u32_e32 v31, s7, v30
	v_cmp_le_u32_e32 vcc_lo, s7, v30
	v_cndmask_b32_e32 v28, v30, v31, vcc_lo
	flat_load_b64 v[32:33], v28, s[8:9] scale_offset
	s_wait_loadcnt_dscnt 0x0
	flat_load_b64 v[28:29], v[32:33] offset:608
	v_add_nc_u64_e32 v[30:31], 0x1f8, v[32:33]
	s_wait_loadcnt_dscnt 0x0
	ds_store_2addr_b64 v0, v[28:29], v[30:31] offset1:1
	s_clause 0x1
	flat_load_b64 v[34:35], v[32:33] offset:520
	flat_load_b128 v[28:31], v[32:33] offset:552
	s_wait_loadcnt_dscnt 0x101
	ds_store_b64 v0, v[34:35]
	s_wait_loadcnt_dscnt 0x1
	ds_store_b64 v0, v[28:29]
	flat_load_b64 v[28:29], v[28:29] scope:SCOPE_SYS
	v_mov_b32_e32 v34, v10
	v_mul_hi_u32 v27, v9, s10
	v_mov_b32_e32 v35, v10
	s_delay_alu instid0(VALU_DEP_2) | instskip(NEXT) | instid1(VALU_DEP_1)
	v_mul_lo_u32 v27, v27, s7
	v_sub_nc_u32_e32 v9, v9, v27
	s_delay_alu instid0(VALU_DEP_1) | instskip(SKIP_1) | instid1(VALU_DEP_2)
	v_subrev_nc_u32_e32 v27, s7, v9
	v_cmp_le_u32_e32 vcc_lo, s7, v9
	v_cndmask_b32_e32 v9, v9, v27, vcc_lo
	s_delay_alu instid0(VALU_DEP_1) | instskip(SKIP_1) | instid1(VALU_DEP_2)
	v_subrev_nc_u32_e32 v27, s7, v9
	v_cmp_le_u32_e32 vcc_lo, s7, v9
	v_cndmask_b32_e32 v9, v9, v27, vcc_lo
	s_wait_loadcnt_dscnt 0x0
	ds_store_2addr_b64 v0, v[28:29], v[34:35] offset1:1
	flat_load_b64 v[34:35], v9, s[8:9] scale_offset
	s_wait_loadcnt_dscnt 0x0
	flat_load_b64 v[28:29], v[34:35] offset:104
	flat_load_b32 v9, v[32:33] offset:576
	s_wait_loadcnt_dscnt 0x101
	ds_store_2addr_b64 v0, v[28:29], v[34:35] offset1:1
	s_clause 0x1
	flat_load_b64 v[28:29], v[34:35] offset:96
	flat_load_b64 v[32:33], v[34:35] offset:16
	ds_store_b64 v0, v[30:31]
	s_wait_loadcnt_dscnt 0x1
	ds_store_2addr_b64 v0, v[28:29], v[32:33] offset1:1
	flat_load_b128 v[28:31], v[34:35] offset:48
	ds_store_b32 v0, v9
	s_wait_loadcnt_dscnt 0x1
	ds_store_b64 v0, v[30:31]
	flat_load_b64 v[30:31], v[30:31] scope:SCOPE_SYS
	s_wait_loadcnt_dscnt 0x0
	ds_store_2addr_b64 v0, v[28:29], v[30:31] offset1:1
	flat_load_b32 v9, v[34:35] offset:72
	ds_store_b64 v0, v[16:17]
	s_wait_loadcnt_dscnt 0x1
	ds_store_b32 v0, v9
.LBB7_31:                               ;   in Loop: Header=BB7_4 Depth=1
	s_or_b32 exec_lo, exec_lo, s6
	s_delay_alu instid0(SALU_CYCLE_1)
	s_mov_b32 s6, exec_lo
	s_trap 2
	v_cmpx_eq_u32_e32 0, v83
	s_cbranch_execz .LBB7_33
; %bb.32:                               ;   in Loop: Header=BB7_4 Depth=1
	ds_store_2addr_b64 v0, v[2:3], v[0:1] offset0:87 offset1:88
	ds_store_b64 v0, v[4:5]
	s_trap 2
.LBB7_33:                               ;   in Loop: Header=BB7_4 Depth=1
	s_or_b32 exec_lo, exec_lo, s6
	s_wait_kmcnt 0x0
	v_cmp_ne_u32_e64 s6, s16, v26
                                        ; implicit-def: $sgpr24
                                        ; implicit-def: $vgpr28_vgpr29
	s_and_saveexec_b32 s7, s6
	s_delay_alu instid0(SALU_CYCLE_1)
	s_xor_b32 s7, exec_lo, s7
	s_cbranch_execz .LBB7_49
; %bb.34:                               ;   in Loop: Header=BB7_4 Depth=1
	v_mov_b64_e32 v[28:29], 0
	s_mov_b32 s24, 0
	s_and_saveexec_b32 s8, s5
	s_cbranch_execz .LBB7_48
; %bb.35:                               ;   in Loop: Header=BB7_4 Depth=1
	s_mov_b32 s10, exec_lo
	s_mov_b32 s9, exec_lo
	v_mbcnt_lo_u32_b32 v0, s10, 0
	global_wb scope:SCOPE_DEV
	s_wait_storecnt_dscnt 0x0
	global_inv scope:SCOPE_DEV
	v_cmpx_eq_u32_e32 0, v0
	s_cbranch_execz .LBB7_37
; %bb.36:                               ;   in Loop: Header=BB7_4 Depth=1
	s_bcnt1_i32_b32 s10, s10
	s_delay_alu instid0(SALU_CYCLE_1)
	v_dual_mov_b32 v1, v10 :: v_dual_mov_b32 v0, s10
	s_wait_loadcnt 0x0
	ds_add_u64 v0, v[0:1]
	s_trap 2
.LBB7_37:                               ;   in Loop: Header=BB7_4 Depth=1
	s_or_b32 exec_lo, exec_lo, s9
	s_trap 2
	ds_load_b64 v[0:1], v0
	s_wait_dscnt 0x0
	v_cmp_lt_u64_e32 vcc_lo, 3, v[0:1]
	s_cbranch_vccnz .LBB7_47
; %bb.38:                               ;   in Loop: Header=BB7_4 Depth=1
	s_mov_b32 s9, 0
	s_mov_b32 s12, 0
                                        ; implicit-def: $sgpr10
                                        ; implicit-def: $sgpr11
	s_branch .LBB7_40
.LBB7_39:                               ;   in Loop: Header=BB7_40 Depth=2
	s_or_b32 exec_lo, exec_lo, s25
	s_delay_alu instid0(SALU_CYCLE_1) | instskip(NEXT) | instid1(SALU_CYCLE_1)
	s_and_b32 s24, exec_lo, s26
	s_or_b32 s9, s24, s9
	s_and_not1_b32 s10, s10, exec_lo
	s_and_b32 s24, s11, exec_lo
	s_delay_alu instid0(SALU_CYCLE_1)
	s_or_b32 s10, s10, s24
	s_and_not1_b32 exec_lo, exec_lo, s9
	s_cbranch_execz .LBB7_44
.LBB7_40:                               ;   Parent Loop BB7_4 Depth=1
                                        ; =>  This Inner Loop Header: Depth=2
	s_add_co_i32 s12, s12, 1
	s_delay_alu instid0(SALU_CYCLE_1) | instskip(SKIP_1) | instid1(SALU_CYCLE_1)
	s_cmp_lg_u32 s12, 0x2710
	s_cselect_b32 s24, -1, 0
	s_and_b32 vcc_lo, exec_lo, s24
	s_cbranch_vccz .LBB7_42
; %bb.41:                               ;   in Loop: Header=BB7_40 Depth=2
	s_mov_b32 s26, -1
	s_or_b32 s11, s11, exec_lo
	s_and_saveexec_b32 s25, s24
	s_cbranch_execz .LBB7_39
	s_branch .LBB7_43
.LBB7_42:                               ;   in Loop: Header=BB7_40 Depth=2
	s_trap 2
	ds_load_b64 v[0:1], v0
	s_and_not1_b32 s24, s24, exec_lo
	s_mov_b32 s12, 0
	s_wait_loadcnt_dscnt 0x0
	flat_load_b32 v0, v[0:1] scope:SCOPE_SYS
	s_wait_loadcnt_dscnt 0x0
	global_inv scope:SCOPE_SYS
	v_cmp_eq_u32_e32 vcc_lo, 0, v0
	s_and_b32 s25, vcc_lo, exec_lo
	s_delay_alu instid0(SALU_CYCLE_1)
	s_or_b32 s24, s24, s25
	s_mov_b32 s26, -1
	s_or_b32 s11, s11, exec_lo
	s_and_saveexec_b32 s25, s24
	s_cbranch_execz .LBB7_39
.LBB7_43:                               ;   in Loop: Header=BB7_40 Depth=2
	s_sleep 1
	s_trap 2
	ds_load_b64 v[0:1], v0
	s_wait_dscnt 0x0
	s_and_not1_b32 s11, s11, exec_lo
	v_cmp_lt_u64_e32 vcc_lo, 3, v[0:1]
	s_or_not1_b32 s26, vcc_lo, exec_lo
	s_branch .LBB7_39
.LBB7_44:                               ;   in Loop: Header=BB7_4 Depth=1
	s_or_b32 exec_lo, exec_lo, s9
	s_and_saveexec_b32 s9, s10
	s_delay_alu instid0(SALU_CYCLE_1)
	s_xor_b32 s9, exec_lo, s9
	s_cbranch_execz .LBB7_46
; %bb.45:                               ;   in Loop: Header=BB7_4 Depth=1
	ds_store_b32 v0, v70
	s_trap 2
.LBB7_46:                               ;   in Loop: Header=BB7_4 Depth=1
	s_or_b32 exec_lo, exec_lo, s9
.LBB7_47:                               ;   in Loop: Header=BB7_4 Depth=1
	v_mov_b64_e32 v[28:29], 4
	s_mov_b32 s24, exec_lo
	;;#ASMSTART
	s_wakeup
	;;#ASMEND
.LBB7_48:                               ;   in Loop: Header=BB7_4 Depth=1
	s_or_b32 exec_lo, exec_lo, s8
.LBB7_49:                               ;   in Loop: Header=BB7_4 Depth=1
	s_and_not1_saveexec_b32 s7, s7
	s_cbranch_execz .LBB7_51
; %bb.50:                               ;   in Loop: Header=BB7_4 Depth=1
	v_mov_b64_e32 v[28:29], 0
	s_and_not1_b32 s8, s24, exec_lo
	s_and_b32 s9, s5, exec_lo
	global_wb scope:SCOPE_DEV
	s_wait_storecnt 0x0
	s_wait_loadcnt_dscnt 0x0
	global_inv scope:SCOPE_DEV
	s_or_b32 s24, s8, s9
	s_barrier_signal -1
	s_barrier_wait -1
.LBB7_51:                               ;   in Loop: Header=BB7_4 Depth=1
	s_or_b32 exec_lo, exec_lo, s7
	v_dual_mul_f32 v1, 0x43000000, v8 :: v_dual_ashrrev_i32 v0, 31, v83
	v_and_b32_e32 v2, 0x7fffffff, v7
	v_dual_ashrrev_i32 v3, 30, v26 :: v_dual_lshlrev_b32 v30, 10, v24
	v_lshlrev_b32_e32 v32, 9, v24
	s_delay_alu instid0(VALU_DEP_4) | instskip(NEXT) | instid1(VALU_DEP_3)
	v_trunc_f32_e32 v1, v1
	v_dual_lshrrev_b32 v0, 27, v0 :: v_dual_bitop2_b32 v3, 1, v3 bitop3:0x54
	s_delay_alu instid0(VALU_DEP_3) | instskip(NEXT) | instid1(VALU_DEP_3)
	v_dual_ashrrev_i32 v31, 31, v30 :: v_dual_ashrrev_i32 v33, 31, v32
	v_fma_f32 v4, -v1, v7, 0x43000000
	s_delay_alu instid0(VALU_DEP_3)
	v_add_nc_u32_e32 v84, 0x318, v0
	v_cvt_i32_f32_e32 v1, v1
	v_cmp_eq_u32_e64 s8, v68, v6
	s_mov_b32 s25, 0
	v_cmp_ge_f32_e64 vcc_lo, |v4|, v2
	v_add_nc_u32_e32 v85, 0x310, v0
	v_add_nc_u32_e32 v0, v83, v0
                                        ; implicit-def: $vgpr36_vgpr37
	s_delay_alu instid0(VALU_DEP_1) | instskip(NEXT) | instid1(VALU_DEP_1)
	v_and_b32_e32 v5, 0xffffffe0, v0
	v_dual_sub_nc_u32 v87, v83, v5 :: v_dual_ashrrev_i32 v86, 5, v0
	v_dual_cndmask_b32 v0, 0, v3, vcc_lo :: v_dual_lshlrev_b32 v34, 8, v24
	v_ashrrev_i32_e32 v27, 31, v26
	s_delay_alu instid0(VALU_DEP_3) | instskip(NEXT) | instid1(VALU_DEP_3)
	v_cmp_gt_i32_e64 s7, 1, v87
	v_dual_lshlrev_b32 v2, 10, v86 :: v_dual_add_nc_u32 v0, v1, v0
	s_delay_alu instid0(VALU_DEP_4) | instskip(NEXT) | instid1(VALU_DEP_2)
	v_ashrrev_i32_e32 v35, 31, v34
	v_lshl_add_u32 v38, v87, 4, v2
	s_delay_alu instid0(VALU_DEP_3) | instskip(SKIP_1) | instid1(VALU_DEP_3)
	v_bfe_i32 v96, v0, 0, 16
	v_lshl_add_u32 v97, v87, 3, v0
	v_ashrrev_i32_e32 v39, 31, v38
	s_branch .LBB7_53
.LBB7_52:                               ;   in Loop: Header=BB7_53 Depth=2
	s_or_b32 exec_lo, exec_lo, s9
	s_wait_dscnt 0x0
	v_cmp_ne_u32_e32 vcc_lo, 0, v98
	v_add_nc_u32_e32 v25, v25, v96
	s_or_b32 s25, vcc_lo, s25
	s_delay_alu instid0(SALU_CYCLE_1)
	s_and_not1_b32 exec_lo, exec_lo, s25
	s_cbranch_execz .LBB7_229
.LBB7_53:                               ;   Parent Loop BB7_4 Depth=1
                                        ; =>  This Loop Header: Depth=2
                                        ;       Child Loop BB7_54 Depth 3
                                        ;       Child Loop BB7_86 Depth 3
	;; [unrolled: 1-line block ×12, first 2 shown]
	s_mov_b32 s9, 0
	s_trap 2
.LBB7_54:                               ;   Parent Loop BB7_4 Depth=1
                                        ;     Parent Loop BB7_53 Depth=2
                                        ; =>    This Inner Loop Header: Depth=3
	ds_load_b32 v0, v0 offset:36
	s_wait_dscnt 0x0
	v_cmp_ne_u32_e32 vcc_lo, 0, v0
	s_or_b32 s9, vcc_lo, s9
	s_delay_alu instid0(SALU_CYCLE_1)
	s_and_not1_b32 exec_lo, exec_lo, s9
	s_cbranch_execnz .LBB7_54
; %bb.55:                               ;   in Loop: Header=BB7_53 Depth=2
	s_or_b32 exec_lo, exec_lo, s9
	ds_load_b32 v98, v0 offset:32
	v_and_b32_e32 v0, 2, v0
	s_mov_b32 s9, exec_lo
	s_delay_alu instid0(VALU_DEP_1)
	v_cmpx_ne_u32_e32 0, v0
	s_xor_b32 s9, exec_lo, s9
	s_cbranch_execnz .LBB7_58
; %bb.56:                               ;   in Loop: Header=BB7_53 Depth=2
	s_and_not1_saveexec_b32 s26, s9
	s_cbranch_execnz .LBB7_64
.LBB7_57:                               ;   in Loop: Header=BB7_53 Depth=2
	s_or_b32 exec_lo, exec_lo, s26
	s_and_saveexec_b32 s9, s8
	s_cbranch_execz .LBB7_52
	s_branch .LBB7_203
.LBB7_58:                               ;   in Loop: Header=BB7_53 Depth=2
	s_and_saveexec_b32 s10, s6
	s_delay_alu instid0(SALU_CYCLE_1)
	s_xor_b32 s10, exec_lo, s10
	s_cbranch_execnz .LBB7_80
; %bb.59:                               ;   in Loop: Header=BB7_53 Depth=2
	s_and_not1_saveexec_b32 s10, s10
	s_cbranch_execnz .LBB7_153
.LBB7_60:                               ;   in Loop: Header=BB7_53 Depth=2
	s_or_b32 exec_lo, exec_lo, s10
	s_and_saveexec_b32 s10, s6
	s_delay_alu instid0(SALU_CYCLE_1)
	s_xor_b32 s10, exec_lo, s10
	s_cbranch_execnz .LBB7_154
.LBB7_61:                               ;   in Loop: Header=BB7_53 Depth=2
	s_and_not1_saveexec_b32 s10, s10
	s_cbranch_execz .LBB7_63
.LBB7_62:                               ;   in Loop: Header=BB7_53 Depth=2
	global_wb scope:SCOPE_DEV
	s_wait_storecnt 0x0
	s_wait_loadcnt_dscnt 0x0
	global_inv scope:SCOPE_DEV
	s_barrier_signal -1
	s_barrier_wait -1
.LBB7_63:                               ;   in Loop: Header=BB7_53 Depth=2
	s_or_b32 exec_lo, exec_lo, s10
	s_and_not1_saveexec_b32 s26, s9
	s_cbranch_execz .LBB7_57
.LBB7_64:                               ;   in Loop: Header=BB7_53 Depth=2
	ds_load_b64 v[4:5], v0
	ds_load_2addr_b64 v[0:3], v0 offset0:87 offset1:88
	v_dual_mov_b32 v99, -1 :: v_dual_bitop2_b32 v7, 36, v11 bitop3:0x40
	s_wait_dscnt 0x0
	ds_load_b32 v6, v0 offset:28
	ds_load_2addr_b32 v[50:51], v0 offset0:5 offset1:6
	v_cmp_lt_i32_e32 vcc_lo, -1, v4
	v_cmp_ne_u32_e64 s9, 0, v7
	s_and_b32 s27, vcc_lo, s9
	s_delay_alu instid0(SALU_CYCLE_1)
	s_and_saveexec_b32 s9, s27
	s_cbranch_execz .LBB7_66
; %bb.65:                               ;   in Loop: Header=BB7_53 Depth=2
	s_trap 2
	ds_load_b64 v[36:37], v0
                                        ; implicit-def: $vgpr99
.LBB7_66:                               ;   in Loop: Header=BB7_53 Depth=2
	s_or_b32 exec_lo, exec_lo, s9
	v_and_b32_e32 v4, 24, v11
	v_cmp_lt_i32_e32 vcc_lo, -1, v5
	s_delay_alu instid0(VALU_DEP_2) | instskip(SKIP_1) | instid1(SALU_CYCLE_1)
	v_cmp_ne_u32_e64 s9, 0, v4
	s_and_b32 s28, vcc_lo, s9
	s_and_saveexec_b32 s9, s28
	s_cbranch_execz .LBB7_68
; %bb.67:                               ;   in Loop: Header=BB7_53 Depth=2
	s_trap 2
	s_wait_dscnt 0x0
	ds_load_b64 v[36:37], v0
                                        ; implicit-def: $vgpr99
.LBB7_68:                               ;   in Loop: Header=BB7_53 Depth=2
	s_or_b32 exec_lo, exec_lo, s9
	v_and_b32_e32 v4, 4, v11
	s_wait_dscnt 0x0
	v_add_nc_u64_e32 v[52:53], 1, v[36:37]
	v_max_i32_e32 v48, 0, v6
	s_delay_alu instid0(VALU_DEP_3) | instskip(SKIP_1) | instid1(SALU_CYCLE_1)
	v_cmp_ne_u32_e32 vcc_lo, 0, v4
	s_and_b32 s9, s27, vcc_lo
	s_and_saveexec_b32 s10, s9
	s_cbranch_execz .LBB7_98
; %bb.69:                               ;   in Loop: Header=BB7_53 Depth=2
	ds_load_2addr_b32 v[4:5], v0 offset0:2 offset1:4
	ds_load_2addr_b64 v[64:67], v99 offset0:3 offset1:6
	ds_load_b32 v9, v99 offset:64
	s_mov_b32 s11, exec_lo
	s_wait_dscnt 0x2
	v_dual_add_nc_u32 v6, v36, v5 :: v_dual_mov_b32 v8, v5
	s_delay_alu instid0(VALU_DEP_1) | instskip(SKIP_2) | instid1(VALU_DEP_2)
	v_and_b32_e32 v49, 7, v6
	v_add_nc_u64_e32 v[6:7], 1, v[36:37]
	s_wait_dscnt 0x0
	v_mad_nc_i64_i32 v[54:55], v49, v9, v[64:65]
	v_dual_ashrrev_i32 v9, 31, v5 :: v_dual_ashrrev_i32 v5, 31, v4
	s_delay_alu instid0(VALU_DEP_1) | instskip(NEXT) | instid1(VALU_DEP_2)
	v_add_nc_u64_e32 v[64:65], v[6:7], v[8:9]
	v_add_nc_u64_e32 v[54:55], v[54:55], v[4:5]
	v_mov_b64_e32 v[4:5], v[8:9]
	ds_store_b64 v0, v[54:55] offset:720
	v_cmpx_lt_u64_e64 v[66:67], v[64:65]
	s_cbranch_execz .LBB7_93
; %bb.70:                               ;   in Loop: Header=BB7_53 Depth=2
	v_and_b32_e32 v9, 64, v11
	s_mov_b32 s12, 0
	s_mov_b32 s42, 0
                                        ; implicit-def: $sgpr29
                                        ; implicit-def: $sgpr40
                                        ; implicit-def: $sgpr41
	s_delay_alu instid0(VALU_DEP_1)
	v_cmp_eq_u32_e32 vcc_lo, 0, v9
	s_branch .LBB7_73
.LBB7_71:                               ;   in Loop: Header=BB7_73 Depth=3
	s_or_b32 exec_lo, exec_lo, s47
	s_delay_alu instid0(SALU_CYCLE_1)
	s_and_not1_b32 s9, s41, exec_lo
	s_and_b32 s41, s45, exec_lo
	s_and_not1_b32 s40, s40, exec_lo
	s_and_b32 s44, s44, exec_lo
	s_or_b32 s41, s9, s41
	s_or_b32 s40, s40, s44
.LBB7_72:                               ;   in Loop: Header=BB7_73 Depth=3
	s_or_b32 exec_lo, exec_lo, s43
	s_delay_alu instid0(SALU_CYCLE_1) | instskip(NEXT) | instid1(SALU_CYCLE_1)
	s_and_b32 s9, exec_lo, s40
	s_or_b32 s12, s9, s12
	s_and_not1_b32 s9, s29, exec_lo
	s_and_b32 s29, s41, exec_lo
	s_delay_alu instid0(SALU_CYCLE_1)
	s_or_b32 s29, s9, s29
	s_and_not1_b32 exec_lo, exec_lo, s12
	s_cbranch_execz .LBB7_90
.LBB7_73:                               ;   Parent Loop BB7_4 Depth=1
                                        ;     Parent Loop BB7_53 Depth=2
                                        ; =>    This Inner Loop Header: Depth=3
	ds_load_b64 v[54:55], v99 offset:40
	s_or_b32 s41, s41, exec_lo
	s_or_b32 s40, s40, exec_lo
                                        ; implicit-def: $vgpr49
	s_wait_dscnt 0x0
	flat_load_b64 v[64:65], v[54:55] scope:SCOPE_SYS
	s_wait_xcnt 0x0
	v_mov_b64_e32 v[54:55], v[4:5]
	s_wait_loadcnt_dscnt 0x0
	ds_store_b64 v99, v[64:65] offset:48
	s_and_saveexec_b32 s43, vcc_lo
	s_cbranch_execz .LBB7_72
; %bb.74:                               ;   in Loop: Header=BB7_73 Depth=3
	s_cmp_gt_i32 s42, 0x270e
	s_mov_b32 s44, -1
	s_cbranch_scc0 .LBB7_78
; %bb.75:                               ;   in Loop: Header=BB7_73 Depth=3
	s_trap 2
	ds_load_b64 v[8:9], v0
	s_mov_b32 s45, 0
	s_mov_b32 s46, 0
	s_mov_b32 s42, exec_lo
                                        ; implicit-def: $vgpr64_vgpr65
	s_wait_dscnt 0x0
	flat_load_b32 v49, v[8:9] scope:SCOPE_SYS
	s_wait_loadcnt_dscnt 0x0
	global_inv scope:SCOPE_SYS
                                        ; implicit-def: $vgpr8
	s_wait_xcnt 0x0
	v_cmpx_eq_u32_e32 0, v49
	s_cbranch_execz .LBB7_77
; %bb.76:                               ;   in Loop: Header=BB7_73 Depth=3
	ds_load_b64 v[64:65], v99 offset:48
	ds_load_b32 v8, v0 offset:16
	s_mov_b32 s46, exec_lo
.LBB7_77:                               ;   in Loop: Header=BB7_73 Depth=3
	s_or_b32 exec_lo, exec_lo, s42
	s_mov_b32 s42, 0
                                        ; implicit-def: $vgpr54_vgpr55
	s_and_saveexec_b32 s47, s46
	s_cbranch_execz .LBB7_71
	s_branch .LBB7_79
.LBB7_78:                               ;   in Loop: Header=BB7_73 Depth=3
	s_add_co_i32 s42, s42, 1
	s_mov_b32 s46, -1
	s_mov_b32 s45, -1
                                        ; implicit-def: $vgpr49
                                        ; implicit-def: $vgpr54_vgpr55
	s_and_saveexec_b32 s47, s46
	s_cbranch_execz .LBB7_71
.LBB7_79:                               ;   in Loop: Header=BB7_73 Depth=3
	s_wait_dscnt 0x0
	v_ashrrev_i32_e32 v9, 31, v8
	s_or_b32 s45, s45, exec_lo
	s_delay_alu instid0(VALU_DEP_1) | instskip(NEXT) | instid1(VALU_DEP_1)
	v_add_nc_u64_e32 v[54:55], v[6:7], v[8:9]
	v_cmp_ge_u64_e64 s9, v[64:65], v[54:55]
	v_mov_b64_e32 v[54:55], v[8:9]
	s_or_not1_b32 s44, s9, exec_lo
	s_branch .LBB7_71
.LBB7_80:                               ;   in Loop: Header=BB7_53 Depth=2
	s_and_saveexec_b32 s11, s24
	s_cbranch_execz .LBB7_152
; %bb.81:                               ;   in Loop: Header=BB7_53 Depth=2
	s_mov_b32 s26, exec_lo
	s_mov_b32 s12, exec_lo
	v_mbcnt_lo_u32_b32 v0, s26, 0
	global_wb scope:SCOPE_DEV
	s_wait_storecnt 0x0
	s_wait_loadcnt_dscnt 0x0
	global_inv scope:SCOPE_DEV
	v_cmpx_eq_u32_e32 0, v0
	s_cbranch_execz .LBB7_83
; %bb.82:                               ;   in Loop: Header=BB7_53 Depth=2
	s_bcnt1_i32_b32 s26, s26
	s_delay_alu instid0(SALU_CYCLE_1)
	v_dual_mov_b32 v1, v10 :: v_dual_mov_b32 v0, s26
	s_wait_loadcnt 0x0
	ds_add_u64 v0, v[0:1]
	s_trap 2
.LBB7_83:                               ;   in Loop: Header=BB7_53 Depth=2
	s_or_b32 exec_lo, exec_lo, s12
	s_trap 2
	ds_load_b64 v[0:1], v0
	s_wait_dscnt 0x0
	v_add_nc_u64_e32 v[28:29], 4, v[28:29]
	s_mov_b32 s12, exec_lo
	s_delay_alu instid0(VALU_DEP_1)
	v_cmpx_lt_u64_e64 v[0:1], v[28:29]
	s_cbranch_execz .LBB7_151
; %bb.84:                               ;   in Loop: Header=BB7_53 Depth=2
	s_mov_b32 s26, 0
	s_mov_b32 s29, 0
                                        ; implicit-def: $sgpr27
                                        ; implicit-def: $sgpr28
	s_branch .LBB7_86
.LBB7_85:                               ;   in Loop: Header=BB7_86 Depth=3
	s_or_b32 exec_lo, exec_lo, s41
	s_delay_alu instid0(SALU_CYCLE_1) | instskip(NEXT) | instid1(SALU_CYCLE_1)
	s_and_b32 s40, exec_lo, s42
	s_or_b32 s26, s40, s26
	s_and_not1_b32 s27, s27, exec_lo
	s_and_b32 s40, s28, exec_lo
	s_delay_alu instid0(SALU_CYCLE_1)
	s_or_b32 s27, s27, s40
	s_and_not1_b32 exec_lo, exec_lo, s26
	s_cbranch_execz .LBB7_149
.LBB7_86:                               ;   Parent Loop BB7_4 Depth=1
                                        ;     Parent Loop BB7_53 Depth=2
                                        ; =>    This Inner Loop Header: Depth=3
	s_add_co_i32 s29, s29, 1
	s_delay_alu instid0(SALU_CYCLE_1) | instskip(SKIP_1) | instid1(SALU_CYCLE_1)
	s_cmp_lg_u32 s29, 0x2710
	s_cselect_b32 s40, -1, 0
	s_and_b32 vcc_lo, exec_lo, s40
	s_cbranch_vccz .LBB7_88
; %bb.87:                               ;   in Loop: Header=BB7_86 Depth=3
	s_mov_b32 s42, -1
	s_or_b32 s28, s28, exec_lo
	s_and_saveexec_b32 s41, s40
	s_cbranch_execz .LBB7_85
	s_branch .LBB7_89
.LBB7_88:                               ;   in Loop: Header=BB7_86 Depth=3
	s_trap 2
	ds_load_b64 v[0:1], v0
	s_and_not1_b32 s40, s40, exec_lo
	s_mov_b32 s29, 0
	s_wait_loadcnt_dscnt 0x0
	flat_load_b32 v0, v[0:1] scope:SCOPE_SYS
	s_wait_loadcnt_dscnt 0x0
	global_inv scope:SCOPE_SYS
	v_cmp_eq_u32_e32 vcc_lo, 0, v0
	s_and_b32 s41, vcc_lo, exec_lo
	s_delay_alu instid0(SALU_CYCLE_1)
	s_or_b32 s40, s40, s41
	s_mov_b32 s42, -1
	s_or_b32 s28, s28, exec_lo
	s_and_saveexec_b32 s41, s40
	s_cbranch_execz .LBB7_85
.LBB7_89:                               ;   in Loop: Header=BB7_86 Depth=3
	s_sleep 1
	s_trap 2
	ds_load_b64 v[0:1], v0
	s_wait_dscnt 0x0
	s_and_not1_b32 s28, s28, exec_lo
	v_cmp_ge_u64_e32 vcc_lo, v[0:1], v[28:29]
	s_or_not1_b32 s42, vcc_lo, exec_lo
	s_branch .LBB7_85
.LBB7_90:                               ;   in Loop: Header=BB7_53 Depth=2
	s_or_b32 exec_lo, exec_lo, s12
	s_xor_b32 s9, s29, -1
	s_delay_alu instid0(SALU_CYCLE_1) | instskip(NEXT) | instid1(SALU_CYCLE_1)
	s_and_saveexec_b32 s12, s9
	s_xor_b32 s9, exec_lo, s12
	s_cbranch_execz .LBB7_92
; %bb.91:                               ;   in Loop: Header=BB7_53 Depth=2
	s_wait_loadcnt_dscnt 0x0
	ds_store_b32 v0, v49
	s_trap 2
	ds_load_b32 v54, v0 offset:16
	s_wait_dscnt 0x0
	v_dual_ashrrev_i32 v55, 31, v54 :: v_dual_bitop2_b32 v11, 64, v11 bitop3:0x54
.LBB7_92:                               ;   in Loop: Header=BB7_53 Depth=2
	s_or_b32 exec_lo, exec_lo, s9
	s_delay_alu instid0(VALU_DEP_1)
	v_mov_b64_e32 v[4:5], v[54:55]
.LBB7_93:                               ;   in Loop: Header=BB7_53 Depth=2
	s_or_b32 exec_lo, exec_lo, s11
	ds_load_b32 v6, v0 offset:8
	ds_load_b32 v49, v99 offset:64
	v_add_nc_u64_e32 v[4:5], v[36:37], v[4:5]
	s_wait_dscnt 0x2
	ds_load_b64 v[8:9], v99 offset:56
	s_mov_b32 s9, exec_lo
	s_wait_dscnt 0x2
	v_add_nc_u32_e32 v6, v6, v48
	s_delay_alu instid0(VALU_DEP_1) | instskip(SKIP_1) | instid1(VALU_DEP_1)
	v_ashrrev_i32_e32 v7, 31, v6
	s_wait_dscnt 0x1
	v_mad_nc_u64_u32 v[6:7], v4, v49, v[6:7]
	s_delay_alu instid0(VALU_DEP_1) | instskip(SKIP_1) | instid1(VALU_DEP_1)
	v_mad_u32 v5, v5, v49, v7
	v_ashrrev_i32_e32 v7, 31, v49
	v_mad_u32 v7, v4, v7, v5
                                        ; implicit-def: $vgpr4_vgpr5
	s_wait_dscnt 0x0
	s_delay_alu instid0(VALU_DEP_1)
	v_cmpx_ge_u64_e64 v[8:9], v[6:7]
	s_xor_b32 s9, exec_lo, s9
; %bb.94:                               ;   in Loop: Header=BB7_53 Depth=2
	ds_load_b64 v[4:5], v0 offset:720
; %bb.95:                               ;   in Loop: Header=BB7_53 Depth=2
	s_and_not1_saveexec_b32 s9, s9
	s_cbranch_execz .LBB7_97
; %bb.96:                               ;   in Loop: Header=BB7_53 Depth=2
	s_wait_dscnt 0x0
	ds_load_b64 v[4:5], v0 offset:48
	s_wait_dscnt 0x0
	v_add_nc_u64_e32 v[4:5], v[2:3], v[4:5]
.LBB7_97:                               ;   in Loop: Header=BB7_53 Depth=2
	s_or_b32 exec_lo, exec_lo, s9
	s_wait_dscnt 0x0
	ds_store_b64 v84, v[4:5]
.LBB7_98:                               ;   in Loop: Header=BB7_53 Depth=2
	s_or_b32 exec_lo, exec_lo, s10
	v_and_b32_e32 v4, 8, v11
	s_delay_alu instid0(VALU_DEP_1) | instskip(SKIP_1) | instid1(SALU_CYCLE_1)
	v_cmp_ne_u32_e32 vcc_lo, 0, v4
	s_and_b32 s9, s28, vcc_lo
	s_and_saveexec_b32 s10, s9
	s_cbranch_execz .LBB7_114
; %bb.99:                               ;   in Loop: Header=BB7_53 Depth=2
	ds_load_b64 v[4:5], v99 offset:48
	s_mov_b32 s11, exec_lo
	s_wait_dscnt 0x0
	v_add_nc_u64_e32 v[6:7], 8, v[4:5]
	v_add_nc_u64_e32 v[4:5], 1, v[36:37]
	s_delay_alu instid0(VALU_DEP_1)
	v_cmpx_lt_u64_e64 v[6:7], v[4:5]
	s_cbranch_execz .LBB7_113
; %bb.100:                              ;   in Loop: Header=BB7_53 Depth=2
	v_and_b32_e32 v6, 64, v11
	s_mov_b32 s12, 0
	s_mov_b32 s42, 0
                                        ; implicit-def: $sgpr29
                                        ; implicit-def: $sgpr40
                                        ; implicit-def: $sgpr41
	s_delay_alu instid0(VALU_DEP_1)
	v_cmp_eq_u32_e32 vcc_lo, 0, v6
	s_branch .LBB7_103
.LBB7_101:                              ;   in Loop: Header=BB7_103 Depth=3
	s_or_b32 exec_lo, exec_lo, s47
	s_delay_alu instid0(SALU_CYCLE_1)
	s_and_not1_b32 s9, s41, exec_lo
	s_and_b32 s41, s45, exec_lo
	s_and_not1_b32 s40, s40, exec_lo
	s_and_b32 s44, s44, exec_lo
	s_or_b32 s41, s9, s41
	s_or_b32 s40, s40, s44
.LBB7_102:                              ;   in Loop: Header=BB7_103 Depth=3
	s_or_b32 exec_lo, exec_lo, s43
	s_delay_alu instid0(SALU_CYCLE_1) | instskip(NEXT) | instid1(SALU_CYCLE_1)
	s_and_b32 s9, exec_lo, s40
	s_or_b32 s12, s9, s12
	s_and_not1_b32 s9, s29, exec_lo
	s_and_b32 s29, s41, exec_lo
	s_delay_alu instid0(SALU_CYCLE_1)
	s_or_b32 s29, s9, s29
	s_and_not1_b32 exec_lo, exec_lo, s12
	s_cbranch_execz .LBB7_110
.LBB7_103:                              ;   Parent Loop BB7_4 Depth=1
                                        ;     Parent Loop BB7_53 Depth=2
                                        ; =>    This Inner Loop Header: Depth=3
	s_wait_dscnt 0x0
	ds_load_b64 v[6:7], v99 offset:32
	s_or_b32 s41, s41, exec_lo
	s_or_b32 s40, s40, exec_lo
                                        ; implicit-def: $vgpr8
	s_wait_dscnt 0x0
	flat_load_b64 v[6:7], v[6:7] scope:SCOPE_SYS
	s_wait_loadcnt_dscnt 0x0
	ds_store_b64 v99, v[6:7] offset:48
	s_wait_xcnt 0x0
	s_and_saveexec_b32 s43, vcc_lo
	s_cbranch_execz .LBB7_102
; %bb.104:                              ;   in Loop: Header=BB7_103 Depth=3
	s_cmp_gt_i32 s42, 0x270e
	s_mov_b32 s44, -1
	s_cbranch_scc0 .LBB7_108
; %bb.105:                              ;   in Loop: Header=BB7_103 Depth=3
	s_trap 2
	ds_load_b64 v[6:7], v0
	s_mov_b32 s45, 0
	s_mov_b32 s46, 0
	s_mov_b32 s42, exec_lo
	s_wait_dscnt 0x0
	flat_load_b32 v8, v[6:7] scope:SCOPE_SYS
	s_wait_loadcnt_dscnt 0x0
	global_inv scope:SCOPE_SYS
                                        ; implicit-def: $vgpr6_vgpr7
	s_wait_xcnt 0x0
	v_cmpx_eq_u32_e32 0, v8
; %bb.106:                              ;   in Loop: Header=BB7_103 Depth=3
	ds_load_b64 v[6:7], v99 offset:48
	s_mov_b32 s46, exec_lo
; %bb.107:                              ;   in Loop: Header=BB7_103 Depth=3
	s_or_b32 exec_lo, exec_lo, s42
	s_mov_b32 s42, 0
	s_and_saveexec_b32 s47, s46
	s_cbranch_execz .LBB7_101
	s_branch .LBB7_109
.LBB7_108:                              ;   in Loop: Header=BB7_103 Depth=3
	s_add_co_i32 s42, s42, 1
	s_mov_b32 s46, -1
	s_mov_b32 s45, -1
                                        ; implicit-def: $vgpr8
	s_and_saveexec_b32 s47, s46
	s_cbranch_execz .LBB7_101
.LBB7_109:                              ;   in Loop: Header=BB7_103 Depth=3
	s_wait_dscnt 0x0
	v_add_nc_u64_e32 v[6:7], 8, v[6:7]
	s_or_b32 s45, s45, exec_lo
	s_delay_alu instid0(VALU_DEP_1)
	v_cmp_ge_u64_e64 s9, v[6:7], v[4:5]
	s_or_not1_b32 s44, s9, exec_lo
	s_branch .LBB7_101
.LBB7_110:                              ;   in Loop: Header=BB7_53 Depth=2
	s_or_b32 exec_lo, exec_lo, s12
	s_xor_b32 s9, s29, -1
	s_delay_alu instid0(SALU_CYCLE_1) | instskip(NEXT) | instid1(SALU_CYCLE_1)
	s_and_saveexec_b32 s12, s9
	s_xor_b32 s9, exec_lo, s12
	s_cbranch_execz .LBB7_112
; %bb.111:                              ;   in Loop: Header=BB7_53 Depth=2
	v_or_b32_e32 v11, 64, v11
	s_wait_loadcnt_dscnt 0x0
	ds_store_b32 v0, v8
	s_trap 2
.LBB7_112:                              ;   in Loop: Header=BB7_53 Depth=2
	s_or_b32 exec_lo, exec_lo, s9
.LBB7_113:                              ;   in Loop: Header=BB7_53 Depth=2
	s_delay_alu instid0(SALU_CYCLE_1)
	s_or_b32 exec_lo, exec_lo, s11
	ds_load_b64 v[4:5], v99 offset:24
	s_wait_dscnt 0x1
	ds_load_b32 v7, v99 offset:64
	ds_load_b32 v6, v0 offset:12
	v_and_b32_e32 v8, 7, v36
	s_wait_dscnt 0x1
	s_delay_alu instid0(VALU_DEP_1) | instskip(SKIP_2) | instid1(VALU_DEP_1)
	v_mad_nc_i64_i32 v[4:5], v8, v7, v[4:5]
	s_wait_dscnt 0x0
	v_ashrrev_i32_e32 v7, 31, v6
	v_add_nc_u64_e32 v[4:5], v[4:5], v[6:7]
	ds_store_b64 v85, v[4:5]
.LBB7_114:                              ;   in Loop: Header=BB7_53 Depth=2
	s_or_b32 exec_lo, exec_lo, s10
	s_trap 2
	ds_load_b32 v4, v0
	ds_load_b64 v[54:55], v0
	v_and_b32_e32 v5, 1, v11
	s_delay_alu instid0(VALU_DEP_1) | instskip(SKIP_3) | instid1(SALU_CYCLE_1)
	v_cmp_eq_u32_e64 s9, 1, v5
	s_wait_dscnt 0x1
	v_cmp_gt_i32_e32 vcc_lo, 0, v4
	s_and_b32 s11, vcc_lo, s9
	s_and_saveexec_b32 s10, s11
	s_cbranch_execnz .LBB7_124
; %bb.115:                              ;   in Loop: Header=BB7_53 Depth=2
	s_or_b32 exec_lo, exec_lo, s10
	s_and_saveexec_b32 s10, s6
	s_delay_alu instid0(SALU_CYCLE_1)
	s_xor_b32 s10, exec_lo, s10
	s_cbranch_execnz .LBB7_127
.LBB7_116:                              ;   in Loop: Header=BB7_53 Depth=2
	s_and_not1_saveexec_b32 s10, s10
	s_cbranch_execz .LBB7_118
.LBB7_117:                              ;   in Loop: Header=BB7_53 Depth=2
	global_wb scope:SCOPE_DEV
	s_wait_storecnt 0x0
	s_wait_loadcnt_dscnt 0x0
	global_inv scope:SCOPE_DEV
	s_barrier_signal -1
	s_barrier_wait -1
.LBB7_118:                              ;   in Loop: Header=BB7_53 Depth=2
	s_or_b32 exec_lo, exec_lo, s10
	ds_load_b32 v5, v0 offset:4
	ds_load_2addr_b64 v[0:3], v0 offset0:90 offset1:99
	s_trap 2
	s_mov_b32 s11, -1
	s_wait_dscnt 0x0
	ds_load_b32 v4, v0
	s_and_saveexec_b32 s10, s7
	s_cbranch_execz .LBB7_120
; %bb.119:                              ;   in Loop: Header=BB7_53 Depth=2
	ds_load_b32 v6, v97 offset:720
	s_wait_dscnt 0x0
	v_and_b32_e32 v6, 15, v6
	s_delay_alu instid0(VALU_DEP_1)
	v_cmp_eq_u32_e32 vcc_lo, 0, v6
	s_or_not1_b32 s11, vcc_lo, exec_lo
.LBB7_120:                              ;   in Loop: Header=BB7_53 Depth=2
	s_or_b32 exec_lo, exec_lo, s10
	v_cmp_gt_i32_e64 s10, 0, v5
	v_cmp_eq_u64_e32 vcc_lo, v[0:1], v[2:3]
	s_mov_b32 s12, exec_lo
	v_cndmask_b32_e64 v5, 2, 1, s10
	v_cndmask_b32_e64 v49, v85, v84, s10
	s_delay_alu instid0(VALU_DEP_2) | instskip(NEXT) | instid1(VALU_DEP_1)
	v_subrev_co_ci_u32_e64 v100, null, 0, v5, vcc_lo
	v_cmpx_lt_i32_e64 v87, v100
	s_cbranch_execz .LBB7_122
; %bb.121:                              ;   in Loop: Header=BB7_53 Depth=2
	s_delay_alu instid0(VALU_DEP_3) | instskip(SKIP_3) | instid1(VALU_DEP_1)
	v_lshl_add_u32 v2, v87, 3, v49
	ds_load_b32 v2, v2
	s_wait_dscnt 0x0
	v_and_b32_e32 v2, 15, v2
	v_cmp_eq_u32_e32 vcc_lo, 0, v2
	s_and_b32 s29, s11, vcc_lo
	s_and_not1_b32 s11, s11, exec_lo
	s_and_b32 s29, s29, exec_lo
	s_delay_alu instid0(SALU_CYCLE_1)
	s_or_b32 s11, s11, s29
.LBB7_122:                              ;   in Loop: Header=BB7_53 Depth=2
	s_or_b32 exec_lo, exec_lo, s12
	s_xor_b32 s11, s11, -1
	v_mov_b32_e32 v6, 0
	v_cndmask_b32_e64 v2, 0, 1, s11
	s_wait_dscnt 0x0
	v_cmp_eq_u32_e64 s11, 0, v4
	s_delay_alu instid0(VALU_DEP_2) | instskip(NEXT) | instid1(VALU_DEP_2)
	v_cmp_ne_u32_e32 vcc_lo, 0, v2
	v_cndmask_b32_e64 v101, 0, v48, s11
	s_mov_b32 s11, -1
	s_cbranch_vccz .LBB7_137
; %bb.123:                              ;   in Loop: Header=BB7_53 Depth=2
	v_dual_mov_b32 v7, v83 :: v_dual_mov_b32 v2, v86
	s_and_saveexec_b32 s12, s11
	s_cbranch_execnz .LBB7_177
	s_branch .LBB7_189
.LBB7_124:                              ;   in Loop: Header=BB7_53 Depth=2
	ds_load_b64 v[6:7], v0 offset:40
	v_mov_b32_e32 v49, v10
	s_mov_b32 s11, exec_lo
	s_wait_dscnt 0x0
	s_delay_alu instid0(VALU_DEP_1)
	v_add_nc_u64_e32 v[4:5], v[6:7], v[48:49]
	v_add_nc_u64_e32 v[0:1], v[0:1], v[6:7]
	ds_store_b64 v0, v[0:1] offset:720
	v_cmpx_lt_u64_e64 v[54:55], v[4:5]
	s_cbranch_execz .LBB7_126
; %bb.125:                              ;   in Loop: Header=BB7_53 Depth=2
	ds_load_b64 v[0:1], v0 offset:48
	v_mov_b64_e32 v[54:55], v[4:5]
	s_wait_dscnt 0x0
	v_add_nc_u64_e32 v[0:1], v[2:3], v[0:1]
.LBB7_126:                              ;   in Loop: Header=BB7_53 Depth=2
	s_or_b32 exec_lo, exec_lo, s11
	ds_store_b64 v84, v[0:1]
	s_or_b32 exec_lo, exec_lo, s10
	s_and_saveexec_b32 s10, s6
	s_delay_alu instid0(SALU_CYCLE_1)
	s_xor_b32 s10, exec_lo, s10
	s_cbranch_execz .LBB7_116
.LBB7_127:                              ;   in Loop: Header=BB7_53 Depth=2
	s_and_saveexec_b32 s11, s24
	s_cbranch_execz .LBB7_167
; %bb.128:                              ;   in Loop: Header=BB7_53 Depth=2
	s_mov_b32 s29, exec_lo
	s_mov_b32 s12, exec_lo
	v_mbcnt_lo_u32_b32 v0, s29, 0
	global_wb scope:SCOPE_DEV
	s_wait_storecnt 0x0
	s_wait_loadcnt_dscnt 0x0
	global_inv scope:SCOPE_DEV
	v_cmpx_eq_u32_e32 0, v0
	s_cbranch_execz .LBB7_130
; %bb.129:                              ;   in Loop: Header=BB7_53 Depth=2
	s_bcnt1_i32_b32 s29, s29
	s_delay_alu instid0(SALU_CYCLE_1)
	v_dual_mov_b32 v1, v10 :: v_dual_mov_b32 v0, s29
	s_wait_loadcnt 0x0
	ds_add_u64 v0, v[0:1]
	s_trap 2
.LBB7_130:                              ;   in Loop: Header=BB7_53 Depth=2
	s_or_b32 exec_lo, exec_lo, s12
	s_trap 2
	ds_load_b64 v[0:1], v0
	s_wait_dscnt 0x0
	v_add_nc_u64_e32 v[28:29], 4, v[28:29]
	s_mov_b32 s12, exec_lo
	s_delay_alu instid0(VALU_DEP_1)
	v_cmpx_lt_u64_e64 v[0:1], v[28:29]
	s_cbranch_execz .LBB7_166
; %bb.131:                              ;   in Loop: Header=BB7_53 Depth=2
	s_mov_b32 s29, 0
	s_mov_b32 s42, 0
                                        ; implicit-def: $sgpr40
                                        ; implicit-def: $sgpr41
	s_branch .LBB7_133
.LBB7_132:                              ;   in Loop: Header=BB7_133 Depth=3
	s_or_b32 exec_lo, exec_lo, s44
	s_delay_alu instid0(SALU_CYCLE_1) | instskip(NEXT) | instid1(SALU_CYCLE_1)
	s_and_b32 s43, exec_lo, s45
	s_or_b32 s29, s43, s29
	s_and_not1_b32 s40, s40, exec_lo
	s_and_b32 s43, s41, exec_lo
	s_delay_alu instid0(SALU_CYCLE_1)
	s_or_b32 s40, s40, s43
	s_and_not1_b32 exec_lo, exec_lo, s29
	s_cbranch_execz .LBB7_164
.LBB7_133:                              ;   Parent Loop BB7_4 Depth=1
                                        ;     Parent Loop BB7_53 Depth=2
                                        ; =>    This Inner Loop Header: Depth=3
	s_add_co_i32 s42, s42, 1
	s_delay_alu instid0(SALU_CYCLE_1) | instskip(SKIP_1) | instid1(SALU_CYCLE_1)
	s_cmp_lg_u32 s42, 0x2710
	s_cselect_b32 s43, -1, 0
	s_and_b32 vcc_lo, exec_lo, s43
	s_cbranch_vccz .LBB7_135
; %bb.134:                              ;   in Loop: Header=BB7_133 Depth=3
	s_mov_b32 s45, -1
	s_or_b32 s41, s41, exec_lo
	s_and_saveexec_b32 s44, s43
	s_cbranch_execz .LBB7_132
	s_branch .LBB7_136
.LBB7_135:                              ;   in Loop: Header=BB7_133 Depth=3
	s_trap 2
	ds_load_b64 v[0:1], v0
	s_and_not1_b32 s43, s43, exec_lo
	s_mov_b32 s42, 0
	s_wait_loadcnt_dscnt 0x0
	flat_load_b32 v0, v[0:1] scope:SCOPE_SYS
	s_wait_loadcnt_dscnt 0x0
	global_inv scope:SCOPE_SYS
	v_cmp_eq_u32_e32 vcc_lo, 0, v0
	s_and_b32 s44, vcc_lo, exec_lo
	s_delay_alu instid0(SALU_CYCLE_1)
	s_or_b32 s43, s43, s44
	s_mov_b32 s45, -1
	s_or_b32 s41, s41, exec_lo
	s_and_saveexec_b32 s44, s43
	s_cbranch_execz .LBB7_132
.LBB7_136:                              ;   in Loop: Header=BB7_133 Depth=3
	s_sleep 1
	s_trap 2
	ds_load_b64 v[0:1], v0
	s_wait_dscnt 0x0
	s_and_not1_b32 s41, s41, exec_lo
	v_cmp_ge_u64_e32 vcc_lo, v[0:1], v[28:29]
	s_or_not1_b32 s45, vcc_lo, exec_lo
	s_branch .LBB7_132
.LBB7_137:                              ;   in Loop: Header=BB7_53 Depth=2
	s_delay_alu instid0(VALU_DEP_1) | instskip(SKIP_1) | instid1(VALU_DEP_1)
	v_lshrrev_b32_e32 v2, 10, v101
	s_mov_b32 s12, exec_lo
	v_sub_nc_u32_e32 v102, v2, v86
	s_delay_alu instid0(VALU_DEP_1)
	v_cmpx_lt_i32_e32 0, v102
	s_cbranch_execz .LBB7_143
; %bb.138:                              ;   in Loop: Header=BB7_53 Depth=2
	ds_load_b64 v[64:65], v49
	v_mov_b64_e32 v[66:67], v[38:39]
	s_mov_b32 s29, 0
	v_cmp_lt_u32_e32 vcc_lo, 1, v100
	s_branch .LBB7_140
.LBB7_139:                              ;   in Loop: Header=BB7_140 Depth=3
	s_wait_xcnt 0x0
	s_or_b32 exec_lo, exec_lo, s11
	v_sub_nc_u32_e32 v102, v102, v24
	v_add_nc_u64_e32 v[66:67], v[66:67], v[30:31]
	s_delay_alu instid0(VALU_DEP_2) | instskip(SKIP_1) | instid1(SALU_CYCLE_1)
	v_cmp_gt_i32_e64 s11, 1, v102
	s_or_b32 s29, s11, s29
	s_and_not1_b32 exec_lo, exec_lo, s29
	s_cbranch_execz .LBB7_142
.LBB7_140:                              ;   Parent Loop BB7_4 Depth=1
                                        ;     Parent Loop BB7_53 Depth=2
                                        ; =>    This Inner Loop Header: Depth=3
	s_delay_alu instid0(VALU_DEP_2)
	v_add_nc_u64_e32 v[2:3], v[0:1], v[66:67]
	s_wait_dscnt 0x0
	v_add_nc_u64_e32 v[112:113], v[64:65], v[66:67]
	s_clause 0x1
	global_load_b128 v[6:9], v[2:3], off th:TH_LOAD_NT
	global_load_b128 v[2:5], v[2:3], off offset:512 th:TH_LOAD_NT
	s_wait_loadcnt 0x1
	global_store_b128 v[112:113], v[6:9], off th:TH_STORE_NT
	s_wait_loadcnt 0x0
	global_store_b128 v[112:113], v[2:5], off offset:512 th:TH_STORE_NT
	s_wait_xcnt 0x0
	s_and_saveexec_b32 s11, vcc_lo
	s_cbranch_execz .LBB7_139
; %bb.141:                              ;   in Loop: Header=BB7_140 Depth=3
	ds_load_b64 v[112:113], v49 offset:8
	s_wait_dscnt 0x0
	v_add_nc_u64_e32 v[112:113], v[66:67], v[112:113]
	s_clause 0x1
	global_store_b128 v[112:113], v[6:9], off th:TH_STORE_NT
	global_store_b128 v[112:113], v[2:5], off offset:512 th:TH_STORE_NT
	s_branch .LBB7_139
.LBB7_142:                              ;   in Loop: Header=BB7_53 Depth=2
	s_or_b32 exec_lo, exec_lo, s29
.LBB7_143:                              ;   in Loop: Header=BB7_53 Depth=2
	s_delay_alu instid0(SALU_CYCLE_1) | instskip(SKIP_4) | instid1(VALU_DEP_2)
	s_or_b32 exec_lo, exec_lo, s12
	v_and_b32_e32 v4, 0x3ff, v101
	v_mov_b32_e32 v6, 0
	s_mov_b32 s11, 0
	s_mov_b32 s29, exec_lo
                                        ; implicit-def: $vgpr3
                                        ; implicit-def: $vgpr7
                                        ; implicit-def: $vgpr2
	v_cmpx_ne_u32_e32 0, v4
	s_cbranch_execz .LBB7_176
; %bb.144:                              ;   in Loop: Header=BB7_53 Depth=2
	v_lshlrev_b32_e32 v2, 5, v102
	v_and_b32_e32 v66, 0x1ff, v101
	s_mov_b32 s40, exec_lo
	s_delay_alu instid0(VALU_DEP_2) | instskip(NEXT) | instid1(VALU_DEP_2)
	v_sub_nc_u32_e32 v2, v87, v2
	v_cmp_lt_u32_e32 vcc_lo, 15, v66
	s_delay_alu instid0(VALU_DEP_2) | instskip(NEXT) | instid1(VALU_DEP_1)
	v_ashrrev_i32_e32 v3, 31, v2
	v_lshrrev_b32_e32 v3, 27, v3
	s_delay_alu instid0(VALU_DEP_1) | instskip(NEXT) | instid1(VALU_DEP_1)
	v_add_nc_u32_e32 v3, v2, v3
	v_and_b32_e32 v5, 0xffffffe0, v3
	s_delay_alu instid0(VALU_DEP_1) | instskip(NEXT) | instid1(VALU_DEP_1)
	v_dual_ashrrev_i32 v3, 5, v3 :: v_dual_sub_nc_u32 v64, v2, v5
	v_lshlrev_b32_e32 v2, 4, v64
	s_delay_alu instid0(VALU_DEP_1) | instskip(NEXT) | instid1(VALU_DEP_1)
	v_lshl_add_u32 v2, v3, 9, v2
	v_dual_lshrrev_b32 v5, 9, v4 :: v_dual_sub_nc_u32 v67, v4, v2
	s_delay_alu instid0(VALU_DEP_1) | instskip(NEXT) | instid1(VALU_DEP_1)
	v_add_co_ci_u32_e64 v5, null, 0, v5, vcc_lo
	v_sub_nc_u32_e32 v65, v5, v3
	s_delay_alu instid0(VALU_DEP_3)
	v_cmpx_lt_i32_e32 15, v67
	s_cbranch_execz .LBB7_173
; %bb.145:                              ;   in Loop: Header=BB7_53 Depth=2
	ds_load_b64 v[6:7], v49
	v_and_b32_e32 v3, 0x7ffffc00, v101
	v_cmp_lt_u32_e64 s11, 1, v100
	s_mov_b32 s41, 0
	v_add_nc_u32_e32 v8, v2, v3
	s_delay_alu instid0(VALU_DEP_1)
	v_ashrrev_i32_e32 v9, 31, v8
	s_branch .LBB7_147
.LBB7_146:                              ;   in Loop: Header=BB7_147 Depth=3
	s_wait_xcnt 0x0
	s_or_b32 exec_lo, exec_lo, s12
	v_sub_nc_u32_e32 v67, v67, v32
	v_add_nc_u64_e32 v[8:9], v[8:9], v[32:33]
	v_sub_nc_u32_e32 v65, v65, v24
	s_delay_alu instid0(VALU_DEP_3) | instskip(SKIP_1) | instid1(SALU_CYCLE_1)
	v_cmp_gt_i32_e64 s12, 16, v67
	s_or_b32 s41, s12, s41
	s_and_not1_b32 exec_lo, exec_lo, s41
	s_cbranch_execz .LBB7_172
.LBB7_147:                              ;   Parent Loop BB7_4 Depth=1
                                        ;     Parent Loop BB7_53 Depth=2
                                        ; =>    This Inner Loop Header: Depth=3
	s_delay_alu instid0(VALU_DEP_1)
	v_add_nc_u64_e32 v[2:3], v[0:1], v[8:9]
	s_wait_dscnt 0x0
	v_add_nc_u64_e32 v[102:103], v[6:7], v[8:9]
	global_load_b128 v[2:5], v[2:3], off th:TH_LOAD_NT
	s_wait_loadcnt 0x0
	global_store_b128 v[102:103], v[2:5], off th:TH_STORE_NT
	s_wait_xcnt 0x0
	s_and_saveexec_b32 s12, s11
	s_cbranch_execz .LBB7_146
; %bb.148:                              ;   in Loop: Header=BB7_147 Depth=3
	ds_load_b64 v[102:103], v49 offset:8
	s_wait_dscnt 0x0
	v_add_nc_u64_e32 v[102:103], v[8:9], v[102:103]
	global_store_b128 v[102:103], v[2:5], off th:TH_STORE_NT
	s_branch .LBB7_146
.LBB7_149:                              ;   in Loop: Header=BB7_53 Depth=2
	s_or_b32 exec_lo, exec_lo, s26
	s_and_saveexec_b32 s26, s27
	s_delay_alu instid0(SALU_CYCLE_1)
	s_xor_b32 s26, exec_lo, s26
	s_cbranch_execz .LBB7_151
; %bb.150:                              ;   in Loop: Header=BB7_53 Depth=2
	ds_store_b32 v0, v70
	s_trap 2
.LBB7_151:                              ;   in Loop: Header=BB7_53 Depth=2
	s_or_b32 exec_lo, exec_lo, s12
	;;#ASMSTART
	s_wakeup
	;;#ASMEND
.LBB7_152:                              ;   in Loop: Header=BB7_53 Depth=2
	s_or_b32 exec_lo, exec_lo, s11
	s_and_not1_saveexec_b32 s10, s10
	s_cbranch_execz .LBB7_60
.LBB7_153:                              ;   in Loop: Header=BB7_53 Depth=2
	global_wb scope:SCOPE_DEV
	s_wait_storecnt 0x0
	s_wait_loadcnt_dscnt 0x0
	global_inv scope:SCOPE_DEV
	s_barrier_signal -1
	s_barrier_wait -1
	s_or_b32 exec_lo, exec_lo, s10
	s_and_saveexec_b32 s10, s6
	s_delay_alu instid0(SALU_CYCLE_1)
	s_xor_b32 s10, exec_lo, s10
	s_cbranch_execz .LBB7_61
.LBB7_154:                              ;   in Loop: Header=BB7_53 Depth=2
	s_and_saveexec_b32 s11, s24
	s_cbranch_execz .LBB7_171
; %bb.155:                              ;   in Loop: Header=BB7_53 Depth=2
	s_mov_b32 s26, exec_lo
	s_mov_b32 s12, exec_lo
	v_mbcnt_lo_u32_b32 v0, s26, 0
	global_wb scope:SCOPE_DEV
	s_wait_storecnt 0x0
	s_wait_loadcnt_dscnt 0x0
	global_inv scope:SCOPE_DEV
	v_cmpx_eq_u32_e32 0, v0
	s_cbranch_execz .LBB7_157
; %bb.156:                              ;   in Loop: Header=BB7_53 Depth=2
	s_bcnt1_i32_b32 s26, s26
	s_delay_alu instid0(SALU_CYCLE_1)
	v_dual_mov_b32 v1, v10 :: v_dual_mov_b32 v0, s26
	s_wait_loadcnt 0x0
	ds_add_u64 v0, v[0:1]
	s_trap 2
.LBB7_157:                              ;   in Loop: Header=BB7_53 Depth=2
	s_or_b32 exec_lo, exec_lo, s12
	s_trap 2
	ds_load_b64 v[0:1], v0
	s_wait_dscnt 0x0
	v_add_nc_u64_e32 v[28:29], 4, v[28:29]
	s_mov_b32 s12, exec_lo
	s_delay_alu instid0(VALU_DEP_1)
	v_cmpx_lt_u64_e64 v[0:1], v[28:29]
	s_cbranch_execz .LBB7_170
; %bb.158:                              ;   in Loop: Header=BB7_53 Depth=2
	s_mov_b32 s26, 0
	s_mov_b32 s29, 0
                                        ; implicit-def: $sgpr27
                                        ; implicit-def: $sgpr28
	s_branch .LBB7_160
.LBB7_159:                              ;   in Loop: Header=BB7_160 Depth=3
	s_or_b32 exec_lo, exec_lo, s41
	s_delay_alu instid0(SALU_CYCLE_1) | instskip(NEXT) | instid1(SALU_CYCLE_1)
	s_and_b32 s40, exec_lo, s42
	s_or_b32 s26, s40, s26
	s_and_not1_b32 s27, s27, exec_lo
	s_and_b32 s40, s28, exec_lo
	s_delay_alu instid0(SALU_CYCLE_1)
	s_or_b32 s27, s27, s40
	s_and_not1_b32 exec_lo, exec_lo, s26
	s_cbranch_execz .LBB7_168
.LBB7_160:                              ;   Parent Loop BB7_4 Depth=1
                                        ;     Parent Loop BB7_53 Depth=2
                                        ; =>    This Inner Loop Header: Depth=3
	s_add_co_i32 s29, s29, 1
	s_delay_alu instid0(SALU_CYCLE_1) | instskip(SKIP_1) | instid1(SALU_CYCLE_1)
	s_cmp_lg_u32 s29, 0x2710
	s_cselect_b32 s40, -1, 0
	s_and_b32 vcc_lo, exec_lo, s40
	s_cbranch_vccz .LBB7_162
; %bb.161:                              ;   in Loop: Header=BB7_160 Depth=3
	s_mov_b32 s42, -1
	s_or_b32 s28, s28, exec_lo
	s_and_saveexec_b32 s41, s40
	s_cbranch_execz .LBB7_159
	s_branch .LBB7_163
.LBB7_162:                              ;   in Loop: Header=BB7_160 Depth=3
	s_trap 2
	ds_load_b64 v[0:1], v0
	s_and_not1_b32 s40, s40, exec_lo
	s_mov_b32 s29, 0
	s_wait_loadcnt_dscnt 0x0
	flat_load_b32 v0, v[0:1] scope:SCOPE_SYS
	s_wait_loadcnt_dscnt 0x0
	global_inv scope:SCOPE_SYS
	v_cmp_eq_u32_e32 vcc_lo, 0, v0
	s_and_b32 s41, vcc_lo, exec_lo
	s_delay_alu instid0(SALU_CYCLE_1)
	s_or_b32 s40, s40, s41
	s_mov_b32 s42, -1
	s_or_b32 s28, s28, exec_lo
	s_and_saveexec_b32 s41, s40
	s_cbranch_execz .LBB7_159
.LBB7_163:                              ;   in Loop: Header=BB7_160 Depth=3
	s_sleep 1
	s_trap 2
	ds_load_b64 v[0:1], v0
	s_wait_dscnt 0x0
	s_and_not1_b32 s28, s28, exec_lo
	v_cmp_ge_u64_e32 vcc_lo, v[0:1], v[28:29]
	s_or_not1_b32 s42, vcc_lo, exec_lo
	s_branch .LBB7_159
.LBB7_164:                              ;   in Loop: Header=BB7_53 Depth=2
	s_or_b32 exec_lo, exec_lo, s29
	s_and_saveexec_b32 s29, s40
	s_delay_alu instid0(SALU_CYCLE_1)
	s_xor_b32 s29, exec_lo, s29
	s_cbranch_execz .LBB7_166
; %bb.165:                              ;   in Loop: Header=BB7_53 Depth=2
	ds_store_b32 v0, v70
	s_trap 2
.LBB7_166:                              ;   in Loop: Header=BB7_53 Depth=2
	s_or_b32 exec_lo, exec_lo, s12
	;;#ASMSTART
	s_wakeup
	;;#ASMEND
.LBB7_167:                              ;   in Loop: Header=BB7_53 Depth=2
	s_or_b32 exec_lo, exec_lo, s11
	s_and_not1_saveexec_b32 s10, s10
	s_cbranch_execnz .LBB7_117
	s_branch .LBB7_118
.LBB7_168:                              ;   in Loop: Header=BB7_53 Depth=2
	s_or_b32 exec_lo, exec_lo, s26
	s_and_saveexec_b32 s26, s27
	s_delay_alu instid0(SALU_CYCLE_1)
	s_xor_b32 s26, exec_lo, s26
	s_cbranch_execz .LBB7_170
; %bb.169:                              ;   in Loop: Header=BB7_53 Depth=2
	ds_store_b32 v0, v70
	s_trap 2
.LBB7_170:                              ;   in Loop: Header=BB7_53 Depth=2
	s_or_b32 exec_lo, exec_lo, s12
	;;#ASMSTART
	s_wakeup
	;;#ASMEND
.LBB7_171:                              ;   in Loop: Header=BB7_53 Depth=2
	s_or_b32 exec_lo, exec_lo, s11
	s_and_not1_saveexec_b32 s10, s10
	s_cbranch_execnz .LBB7_62
	s_branch .LBB7_63
.LBB7_172:                              ;   in Loop: Header=BB7_53 Depth=2
	s_or_b32 exec_lo, exec_lo, s41
.LBB7_173:                              ;   in Loop: Header=BB7_53 Depth=2
	s_delay_alu instid0(SALU_CYCLE_1) | instskip(SKIP_3) | instid1(VALU_DEP_1)
	s_or_b32 exec_lo, exec_lo, s40
	v_dual_mov_b32 v6, 0 :: v_dual_bitop2_b32 v2, 15, v101 bitop3:0x40
	s_mov_b32 s12, 0
	s_mov_b32 s40, exec_lo
                                        ; implicit-def: $vgpr7
	v_cndmask_b32_e32 v3, v66, v2, vcc_lo
                                        ; implicit-def: $vgpr2
	s_delay_alu instid0(VALU_DEP_1)
	v_cmpx_ne_u32_e32 0, v3
	s_cbranch_execz .LBB7_175
; %bb.174:                              ;   in Loop: Header=BB7_53 Depth=2
	v_cmp_lt_i32_e64 s11, 0, v65
	v_cndmask_b32_e32 v4, 0x7ffffe00, v81, vcc_lo
	s_mov_b32 s12, exec_lo
	s_delay_alu instid0(VALU_DEP_1) | instskip(NEXT) | instid1(VALU_DEP_1)
	v_dual_cndmask_b32 v2, 0, v24, s11 :: v_dual_bitop2_b32 v6, v4, v101 bitop3:0x40
	v_sub_nc_u32_e32 v2, v2, v65
	s_delay_alu instid0(VALU_DEP_1) | instskip(NEXT) | instid1(VALU_DEP_1)
	v_lshl_add_u32 v7, v2, 5, v64
	v_ashrrev_i32_e32 v2, 31, v7
	s_delay_alu instid0(VALU_DEP_1) | instskip(NEXT) | instid1(VALU_DEP_1)
	v_lshrrev_b32_e32 v2, 27, v2
	v_add_nc_u32_e32 v2, v7, v2
	s_delay_alu instid0(VALU_DEP_1)
	v_ashrrev_i32_e32 v2, 5, v2
.LBB7_175:                              ;   in Loop: Header=BB7_53 Depth=2
	s_or_b32 exec_lo, exec_lo, s40
	s_delay_alu instid0(SALU_CYCLE_1)
	s_and_b32 s11, s12, exec_lo
.LBB7_176:                              ;   in Loop: Header=BB7_53 Depth=2
	s_or_b32 exec_lo, exec_lo, s29
	v_mov_b32_e32 v101, v3
	s_and_saveexec_b32 s12, s11
	s_cbranch_execz .LBB7_189
.LBB7_177:                              ;   in Loop: Header=BB7_53 Depth=2
	s_delay_alu instid0(VALU_DEP_1) | instskip(SKIP_1) | instid1(VALU_DEP_1)
	v_lshrrev_b32_e32 v3, 8, v101
	s_mov_b32 s29, exec_lo
	v_dual_sub_nc_u32 v8, v3, v2 :: v_dual_ashrrev_i32 v3, 31, v7
	s_delay_alu instid0(VALU_DEP_1) | instskip(NEXT) | instid1(VALU_DEP_2)
	v_lshrrev_b32_e32 v9, 27, v3
	v_cmpx_lt_i32_e32 0, v8
	s_cbranch_execz .LBB7_183
; %bb.178:                              ;   in Loop: Header=BB7_53 Depth=2
	s_delay_alu instid0(VALU_DEP_2) | instskip(SKIP_2) | instid1(VALU_DEP_2)
	v_dual_add_nc_u32 v3, v7, v9 :: v_dual_lshlrev_b32 v5, 8, v2
	s_mov_b32 s40, 0
	v_cmp_lt_u32_e32 vcc_lo, 1, v100
	v_and_b32_e32 v3, 0xffffffe0, v3
	s_delay_alu instid0(VALU_DEP_1) | instskip(SKIP_2) | instid1(VALU_DEP_1)
	v_sub_nc_u32_e32 v4, v7, v3
	ds_load_b64 v[2:3], v49
	v_add3_u32 v4, v4, v5, v6
	v_ashrrev_i32_e32 v5, 31, v4
	s_delay_alu instid0(VALU_DEP_1)
	v_add_nc_u64_e32 v[4:5], 0xe0, v[4:5]
	s_branch .LBB7_180
.LBB7_179:                              ;   in Loop: Header=BB7_180 Depth=3
	s_wait_xcnt 0x0
	s_or_b32 exec_lo, exec_lo, s11
	v_sub_nc_u32_e32 v8, v8, v24
	v_add_nc_u64_e32 v[4:5], v[4:5], v[34:35]
	s_delay_alu instid0(VALU_DEP_2) | instskip(SKIP_1) | instid1(SALU_CYCLE_1)
	v_cmp_gt_i32_e64 s11, 1, v8
	s_or_b32 s40, s11, s40
	s_and_not1_b32 exec_lo, exec_lo, s40
	s_cbranch_execz .LBB7_182
.LBB7_180:                              ;   Parent Loop BB7_4 Depth=1
                                        ;     Parent Loop BB7_53 Depth=2
                                        ; =>    This Inner Loop Header: Depth=3
	s_delay_alu instid0(VALU_DEP_1)
	v_add_nc_u64_e32 v[114:115], v[0:1], v[4:5]
	s_clause 0x7
	flat_load_u8 v64, v[114:115] offset:-224 th:TH_LOAD_NT
	flat_load_u8 v65, v[114:115] offset:-192 th:TH_LOAD_NT
	;; [unrolled: 1-line block ×7, first 2 shown]
	flat_load_u8 v113, v[114:115] th:TH_LOAD_NT
	s_wait_dscnt 0x8
	s_wait_xcnt 0x0
	v_add_nc_u64_e32 v[114:115], v[2:3], v[4:5]
	s_wait_loadcnt_dscnt 0x707
	flat_store_b8 v[114:115], v64 offset:-224 th:TH_STORE_NT
	s_wait_loadcnt_dscnt 0x607
	flat_store_b8 v[114:115], v65 offset:-192 th:TH_STORE_NT
	;; [unrolled: 2-line block ×7, first 2 shown]
	s_wait_loadcnt_dscnt 0x7
	flat_store_b8 v[114:115], v113 th:TH_STORE_NT
	s_wait_xcnt 0x0
	s_and_saveexec_b32 s11, vcc_lo
	s_cbranch_execz .LBB7_179
; %bb.181:                              ;   in Loop: Header=BB7_180 Depth=3
	ds_load_b64 v[114:115], v49 offset:8
	s_wait_dscnt 0x0
	v_add_nc_u64_e32 v[114:115], v[4:5], v[114:115]
	s_clause 0x7
	flat_store_b8 v[114:115], v64 offset:-224 th:TH_STORE_NT
	flat_store_b8 v[114:115], v65 offset:-192 th:TH_STORE_NT
	;; [unrolled: 1-line block ×7, first 2 shown]
	flat_store_b8 v[114:115], v113 th:TH_STORE_NT
	s_branch .LBB7_179
.LBB7_182:                              ;   in Loop: Header=BB7_53 Depth=2
	s_or_b32 exec_lo, exec_lo, s40
.LBB7_183:                              ;   in Loop: Header=BB7_53 Depth=2
	s_delay_alu instid0(SALU_CYCLE_1) | instskip(SKIP_1) | instid1(VALU_DEP_1)
	s_or_b32 exec_lo, exec_lo, s29
	v_and_b32_e32 v4, 0xffffff00, v101
	v_cmp_ne_u32_e32 vcc_lo, v101, v4
	s_and_b32 exec_lo, exec_lo, vcc_lo
	s_cbranch_execz .LBB7_189
; %bb.184:                              ;   in Loop: Header=BB7_53 Depth=2
	v_dual_add_nc_u32 v0, v7, v9 :: v_dual_lshlrev_b32 v1, 5, v8
	s_delay_alu instid0(VALU_DEP_1) | instskip(NEXT) | instid1(VALU_DEP_1)
	v_and_b32_e32 v0, 0xffffffe0, v0
	v_sub_nc_u32_e32 v0, v7, v0
	s_delay_alu instid0(VALU_DEP_1) | instskip(SKIP_1) | instid1(VALU_DEP_1)
	v_sub_nc_u32_e32 v5, v0, v1
	v_and_b32_e32 v0, 0xff, v101
	v_sub_nc_u32_e32 v7, v0, v5
	s_delay_alu instid0(VALU_DEP_1)
	v_cmp_lt_i32_e32 vcc_lo, 0, v7
	s_and_b32 exec_lo, exec_lo, vcc_lo
	s_cbranch_execz .LBB7_189
; %bb.185:                              ;   in Loop: Header=BB7_53 Depth=2
	v_cndmask_b32_e64 v0, 0x310, v82, s10
	v_add3_u32 v4, v4, v6, v5
	s_mov_b32 s11, 0
	v_cmp_lt_u32_e32 vcc_lo, 1, v100
	s_delay_alu instid0(VALU_DEP_3) | instskip(NEXT) | instid1(VALU_DEP_3)
	v_add_nc_u32_e32 v0, v0, v0
	v_ashrrev_i32_e32 v5, 31, v4
	ds_load_b64 v[0:1], v0
	s_wait_dscnt 0x0
	ds_load_b64 v[2:3], v0 offset:720
	s_branch .LBB7_187
.LBB7_186:                              ;   in Loop: Header=BB7_187 Depth=3
	s_wait_xcnt 0x0
	s_or_b32 exec_lo, exec_lo, s10
	v_sub_nc_u32_e32 v7, v7, v26
	v_add_nc_u64_e32 v[4:5], v[4:5], v[26:27]
	s_delay_alu instid0(VALU_DEP_2) | instskip(SKIP_1) | instid1(SALU_CYCLE_1)
	v_cmp_gt_i32_e64 s10, 1, v7
	s_or_b32 s11, s10, s11
	s_and_not1_b32 exec_lo, exec_lo, s11
	s_cbranch_execz .LBB7_189
.LBB7_187:                              ;   Parent Loop BB7_4 Depth=1
                                        ;     Parent Loop BB7_53 Depth=2
                                        ; =>    This Inner Loop Header: Depth=3
	s_wait_dscnt 0x0
	v_add_nc_u64_e32 v[8:9], v[2:3], v[4:5]
	flat_load_u8 v6, v[8:9] th:TH_LOAD_NT
	s_wait_xcnt 0x0
	v_add_nc_u64_e32 v[8:9], v[0:1], v[4:5]
	s_wait_loadcnt_dscnt 0x0
	flat_store_b8 v[8:9], v6 th:TH_STORE_NT
	s_wait_xcnt 0x0
	s_and_saveexec_b32 s10, vcc_lo
	s_cbranch_execz .LBB7_186
; %bb.188:                              ;   in Loop: Header=BB7_187 Depth=3
	ds_load_b64 v[8:9], v49 offset:8
	s_wait_dscnt 0x0
	v_add_nc_u64_e32 v[8:9], v[4:5], v[8:9]
	flat_store_b8 v[8:9], v6 th:TH_STORE_NT
	s_branch .LBB7_186
.LBB7_189:                              ;   in Loop: Header=BB7_53 Depth=2
	s_or_b32 exec_lo, exec_lo, s12
	v_and_b32_e32 v0, 16, v11
	v_cmp_ne_u32_e32 vcc_lo, 0, v51
	s_delay_alu instid0(VALU_DEP_2) | instskip(SKIP_1) | instid1(SALU_CYCLE_1)
	v_cmp_ne_u32_e64 s10, 0, v0
	s_and_b32 s11, vcc_lo, s28
	s_and_b32 s11, s11, s10
	s_delay_alu instid0(SALU_CYCLE_1)
	s_and_saveexec_b32 s10, s11
	s_cbranch_execz .LBB7_193
; %bb.190:                              ;   in Loop: Header=BB7_53 Depth=2
	ds_load_b64 v[0:1], v99 offset:16
	s_mov_b32 s12, exec_lo
	s_wait_dscnt 0x0
	v_cmpx_ne_u64_e32 0, v[0:1]
	s_cbranch_execz .LBB7_192
; %bb.191:                              ;   in Loop: Header=BB7_53 Depth=2
	ds_load_b32 v2, v0 offset:12
	v_and_b32_e32 v3, 7, v36
	s_delay_alu instid0(VALU_DEP_1) | instskip(SKIP_2) | instid1(VALU_DEP_1)
	v_mad_nc_u64_u32 v[0:1], v3, 24, v[0:1]
	s_wait_dscnt 0x0
	v_add_nc_u32_e32 v2, v2, v48
	v_ashrrev_i32_e32 v3, 31, v2
	flat_store_b64 v[0:1], v[2:3] offset:8
.LBB7_192:                              ;   in Loop: Header=BB7_53 Depth=2
	s_wait_xcnt 0x0
	s_or_b32 exec_lo, exec_lo, s12
	ds_load_b64 v[0:1], v99 offset:8
	v_mov_b64_e32 v[36:37], v[52:53]
	ds_store_b64 v99, v[52:53]
	s_wait_dscnt 0x1
	flat_store_b64 v[0:1], v[52:53] offset:104 th:TH_STORE_NT
.LBB7_193:                              ;   in Loop: Header=BB7_53 Depth=2
	s_wait_xcnt 0x0
	s_or_b32 exec_lo, exec_lo, s10
	v_and_b32_e32 v0, 32, v11
	v_cmp_ne_u32_e32 vcc_lo, 0, v50
	s_delay_alu instid0(VALU_DEP_2) | instskip(SKIP_1) | instid1(SALU_CYCLE_1)
	v_cmp_ne_u32_e64 s10, 0, v0
	s_and_b32 s12, s27, vcc_lo
	s_and_b32 s10, s12, s10
	s_delay_alu instid0(SALU_CYCLE_1)
	s_and_saveexec_b32 s12, s10
	s_cbranch_execz .LBB7_195
; %bb.194:                              ;   in Loop: Header=BB7_53 Depth=2
	ds_load_b64 v[0:1], v99 offset:8
	v_add_nc_u64_e32 v[36:37], 1, v[36:37]
	ds_store_b64 v99, v[36:37]
	s_wait_dscnt 0x1
	flat_store_b64 v[0:1], v[36:37] offset:104 th:TH_STORE_NT
.LBB7_195:                              ;   in Loop: Header=BB7_53 Depth=2
	s_wait_xcnt 0x0
	s_or_b32 exec_lo, exec_lo, s12
	ds_load_b32 v0, v0
	s_mov_b32 s12, exec_lo
	s_wait_dscnt 0x0
	v_cmpx_lt_i32_e32 -1, v0
	s_xor_b32 s12, exec_lo, s12
	s_cbranch_execnz .LBB7_204
; %bb.196:                              ;   in Loop: Header=BB7_53 Depth=2
	s_and_not1_saveexec_b32 s12, s12
	s_cbranch_execnz .LBB7_207
.LBB7_197:                              ;   in Loop: Header=BB7_53 Depth=2
	s_or_b32 exec_lo, exec_lo, s12
	s_and_saveexec_b32 s9, s6
	s_delay_alu instid0(SALU_CYCLE_1)
	s_xor_b32 s9, exec_lo, s9
	s_cbranch_execnz .LBB7_213
.LBB7_198:                              ;   in Loop: Header=BB7_53 Depth=2
	s_and_not1_saveexec_b32 s9, s9
	s_cbranch_execnz .LBB7_227
.LBB7_199:                              ;   in Loop: Header=BB7_53 Depth=2
	s_or_b32 exec_lo, exec_lo, s9
	s_and_saveexec_b32 s9, s11
	s_cbranch_execnz .LBB7_228
.LBB7_200:                              ;   in Loop: Header=BB7_53 Depth=2
	s_or_b32 exec_lo, exec_lo, s9
	s_and_saveexec_b32 s9, s10
	s_cbranch_execz .LBB7_202
.LBB7_201:                              ;   in Loop: Header=BB7_53 Depth=2
	ds_load_b64 v[0:1], v99 offset:32
	s_wait_dscnt 0x0
	flat_store_b64 v[0:1], v[36:37] th:TH_STORE_NT
.LBB7_202:                              ;   in Loop: Header=BB7_53 Depth=2
	s_wait_xcnt 0x0
	s_or_b32 exec_lo, exec_lo, s9
	s_delay_alu instid0(SALU_CYCLE_1)
	s_or_b32 exec_lo, exec_lo, s26
	s_and_saveexec_b32 s9, s8
	s_cbranch_execz .LBB7_52
.LBB7_203:                              ;   in Loop: Header=BB7_53 Depth=2
	s_wait_storecnt 0x0
	s_wait_loadcnt_dscnt 0x0
	ds_store_b32 v0, v10 offset:36
	s_branch .LBB7_52
.LBB7_204:                              ;   in Loop: Header=BB7_53 Depth=2
	v_and_b32_e32 v0, 4, v11
	s_mov_b32 s27, exec_lo
	s_delay_alu instid0(VALU_DEP_1)
	v_cmpx_ne_u32_e32 0, v0
	s_cbranch_execz .LBB7_206
; %bb.205:                              ;   in Loop: Header=BB7_53 Depth=2
	ds_load_2addr_b32 v[0:1], v0 offset0:2 offset1:4
	ds_load_b32 v4, v99 offset:64
	s_wait_dscnt 0x1
	v_dual_mov_b32 v2, v1 :: v_dual_ashrrev_i32 v3, 31, v1
	v_add_nc_u32_e32 v0, v0, v48
	s_delay_alu instid0(VALU_DEP_2) | instskip(NEXT) | instid1(VALU_DEP_2)
	v_add_nc_u64_e32 v[2:3], v[36:37], v[2:3]
	v_ashrrev_i32_e32 v1, 31, v0
	s_wait_dscnt 0x0
	s_delay_alu instid0(VALU_DEP_1) | instskip(NEXT) | instid1(VALU_DEP_1)
	v_mad_nc_u64_u32 v[0:1], v2, v4, v[0:1]
	v_mad_u32 v1, v3, v4, v1
	v_ashrrev_i32_e32 v3, 31, v4
	s_delay_alu instid0(VALU_DEP_1)
	v_mad_u32 v1, v2, v3, v1
	ds_max_i64 v99, v[0:1] offset:56
.LBB7_206:                              ;   in Loop: Header=BB7_53 Depth=2
	s_or_b32 exec_lo, exec_lo, s27
                                        ; implicit-def: $vgpr54_vgpr55
	s_and_not1_saveexec_b32 s12, s12
	s_cbranch_execz .LBB7_197
.LBB7_207:                              ;   in Loop: Header=BB7_53 Depth=2
	s_and_saveexec_b32 s27, s9
	s_cbranch_execz .LBB7_212
; %bb.208:                              ;   in Loop: Header=BB7_53 Depth=2
	v_mov_b64_e32 v[0:1], 0x8000000000000000
	s_mov_b32 s9, exec_lo
.LBB7_209:                              ;   Parent Loop BB7_4 Depth=1
                                        ;     Parent Loop BB7_53 Depth=2
                                        ; =>    This Inner Loop Header: Depth=3
	s_delay_alu instid0(SALU_CYCLE_1) | instskip(NEXT) | instid1(SALU_CYCLE_1)
	s_ctz_i32_b32 s40, s9
	v_readlane_b32 s29, v55, s40
	v_readlane_b32 s28, v54, s40
	s_delay_alu instid0(VALU_DEP_1) | instskip(SKIP_1) | instid1(SALU_CYCLE_1)
	v_max_i64 v[0:1], v[0:1], s[28:29]
	s_lshl_b32 s28, 1, s40
	s_and_not1_b32 s9, s9, s28
	s_delay_alu instid0(SALU_CYCLE_1)
	s_cmp_lg_u32 s9, 0
	s_cbranch_scc1 .LBB7_209
; %bb.210:                              ;   in Loop: Header=BB7_53 Depth=2
	v_mbcnt_lo_u32_b32 v2, exec_lo, 0
	s_mov_b32 s9, exec_lo
	s_delay_alu instid0(VALU_DEP_1)
	v_cmpx_eq_u32_e32 0, v2
	s_xor_b32 s9, exec_lo, s9
	s_cbranch_execz .LBB7_212
; %bb.211:                              ;   in Loop: Header=BB7_53 Depth=2
	ds_max_i64 v0, v[0:1]
	s_trap 2
.LBB7_212:                              ;   in Loop: Header=BB7_53 Depth=2
	s_or_b32 exec_lo, exec_lo, s27
	s_delay_alu instid0(SALU_CYCLE_1) | instskip(SKIP_1) | instid1(SALU_CYCLE_1)
	s_or_b32 exec_lo, exec_lo, s12
	s_and_saveexec_b32 s9, s6
	s_xor_b32 s9, exec_lo, s9
	s_cbranch_execz .LBB7_198
.LBB7_213:                              ;   in Loop: Header=BB7_53 Depth=2
	s_and_saveexec_b32 s12, s24
	s_cbranch_execz .LBB7_226
; %bb.214:                              ;   in Loop: Header=BB7_53 Depth=2
	s_mov_b32 s28, exec_lo
	s_mov_b32 s27, exec_lo
	v_mbcnt_lo_u32_b32 v0, s28, 0
	global_wb scope:SCOPE_DEV
	s_wait_storecnt 0x0
	s_wait_loadcnt_dscnt 0x0
	global_inv scope:SCOPE_DEV
	v_cmpx_eq_u32_e32 0, v0
	s_cbranch_execz .LBB7_216
; %bb.215:                              ;   in Loop: Header=BB7_53 Depth=2
	s_bcnt1_i32_b32 s28, s28
	s_delay_alu instid0(SALU_CYCLE_1)
	v_dual_mov_b32 v1, v10 :: v_dual_mov_b32 v0, s28
	s_wait_loadcnt 0x0
	ds_add_u64 v0, v[0:1]
	s_trap 2
.LBB7_216:                              ;   in Loop: Header=BB7_53 Depth=2
	s_or_b32 exec_lo, exec_lo, s27
	s_trap 2
	ds_load_b64 v[0:1], v0
	s_wait_dscnt 0x0
	v_add_nc_u64_e32 v[28:29], 4, v[28:29]
	s_mov_b32 s27, exec_lo
	s_delay_alu instid0(VALU_DEP_1)
	v_cmpx_lt_u64_e64 v[0:1], v[28:29]
	s_cbranch_execz .LBB7_225
; %bb.217:                              ;   in Loop: Header=BB7_53 Depth=2
	s_mov_b32 s28, 0
	s_mov_b32 s41, 0
                                        ; implicit-def: $sgpr29
                                        ; implicit-def: $sgpr40
	s_branch .LBB7_219
.LBB7_218:                              ;   in Loop: Header=BB7_219 Depth=3
	s_or_b32 exec_lo, exec_lo, s43
	s_delay_alu instid0(SALU_CYCLE_1) | instskip(NEXT) | instid1(SALU_CYCLE_1)
	s_and_b32 s42, exec_lo, s44
	s_or_b32 s28, s42, s28
	s_and_not1_b32 s29, s29, exec_lo
	s_and_b32 s42, s40, exec_lo
	s_delay_alu instid0(SALU_CYCLE_1)
	s_or_b32 s29, s29, s42
	s_and_not1_b32 exec_lo, exec_lo, s28
	s_cbranch_execz .LBB7_223
.LBB7_219:                              ;   Parent Loop BB7_4 Depth=1
                                        ;     Parent Loop BB7_53 Depth=2
                                        ; =>    This Inner Loop Header: Depth=3
	s_add_co_i32 s41, s41, 1
	s_delay_alu instid0(SALU_CYCLE_1) | instskip(SKIP_1) | instid1(SALU_CYCLE_1)
	s_cmp_lg_u32 s41, 0x2710
	s_cselect_b32 s42, -1, 0
	s_and_b32 vcc_lo, exec_lo, s42
	s_cbranch_vccz .LBB7_221
; %bb.220:                              ;   in Loop: Header=BB7_219 Depth=3
	s_mov_b32 s44, -1
	s_or_b32 s40, s40, exec_lo
	s_and_saveexec_b32 s43, s42
	s_cbranch_execz .LBB7_218
	s_branch .LBB7_222
.LBB7_221:                              ;   in Loop: Header=BB7_219 Depth=3
	s_trap 2
	ds_load_b64 v[0:1], v0
	s_and_not1_b32 s42, s42, exec_lo
	s_mov_b32 s41, 0
	s_wait_loadcnt_dscnt 0x0
	flat_load_b32 v0, v[0:1] scope:SCOPE_SYS
	s_wait_loadcnt_dscnt 0x0
	global_inv scope:SCOPE_SYS
	v_cmp_eq_u32_e32 vcc_lo, 0, v0
	s_and_b32 s43, vcc_lo, exec_lo
	s_delay_alu instid0(SALU_CYCLE_1)
	s_or_b32 s42, s42, s43
	s_mov_b32 s44, -1
	s_or_b32 s40, s40, exec_lo
	s_and_saveexec_b32 s43, s42
	s_cbranch_execz .LBB7_218
.LBB7_222:                              ;   in Loop: Header=BB7_219 Depth=3
	s_sleep 1
	s_trap 2
	ds_load_b64 v[0:1], v0
	s_wait_dscnt 0x0
	s_and_not1_b32 s40, s40, exec_lo
	v_cmp_ge_u64_e32 vcc_lo, v[0:1], v[28:29]
	s_or_not1_b32 s44, vcc_lo, exec_lo
	s_branch .LBB7_218
.LBB7_223:                              ;   in Loop: Header=BB7_53 Depth=2
	s_or_b32 exec_lo, exec_lo, s28
	s_and_saveexec_b32 s28, s29
	s_delay_alu instid0(SALU_CYCLE_1)
	s_xor_b32 s28, exec_lo, s28
	s_cbranch_execz .LBB7_225
; %bb.224:                              ;   in Loop: Header=BB7_53 Depth=2
	ds_store_b32 v0, v70
	s_trap 2
.LBB7_225:                              ;   in Loop: Header=BB7_53 Depth=2
	s_or_b32 exec_lo, exec_lo, s27
	;;#ASMSTART
	s_wakeup
	;;#ASMEND
.LBB7_226:                              ;   in Loop: Header=BB7_53 Depth=2
	s_or_b32 exec_lo, exec_lo, s12
	s_and_not1_saveexec_b32 s9, s9
	s_cbranch_execz .LBB7_199
.LBB7_227:                              ;   in Loop: Header=BB7_53 Depth=2
	global_wb scope:SCOPE_DEV
	s_wait_storecnt 0x0
	s_wait_loadcnt_dscnt 0x0
	global_inv scope:SCOPE_DEV
	s_barrier_signal -1
	s_barrier_wait -1
	s_or_b32 exec_lo, exec_lo, s9
	s_and_saveexec_b32 s9, s11
	s_cbranch_execz .LBB7_200
.LBB7_228:                              ;   in Loop: Header=BB7_53 Depth=2
	ds_load_b64 v[0:1], v99 offset:40
	s_wait_dscnt 0x0
	flat_store_b64 v[0:1], v[36:37] th:TH_STORE_NT
	s_wait_xcnt 0x0
	s_or_b32 exec_lo, exec_lo, s9
	s_and_saveexec_b32 s9, s10
	s_cbranch_execnz .LBB7_201
	s_branch .LBB7_202
.LBB7_229:                              ;   in Loop: Header=BB7_4 Depth=1
	s_or_b32 exec_lo, exec_lo, s25
	v_and_b32_e32 v0, 0x800, v11
	s_delay_alu instid0(VALU_DEP_1)
	v_cmp_eq_u32_e32 vcc_lo, 0, v0
	s_and_b32 exec_lo, exec_lo, vcc_lo
	s_cbranch_execz .LBB7_258
; %bb.230:                              ;   in Loop: Header=BB7_4 Depth=1
	v_and_b32_e32 v0, 48, v11
	s_mov_b32 s7, exec_lo
	s_delay_alu instid0(VALU_DEP_1)
	v_cmpx_ne_u32_e32 0, v0
	s_cbranch_execz .LBB7_232
; %bb.231:                              ;   in Loop: Header=BB7_4 Depth=1
	flat_store_b64 v[12:13], v[36:37]
.LBB7_232:                              ;   in Loop: Header=BB7_4 Depth=1
	s_wait_xcnt 0x0
	s_or_b32 exec_lo, exec_lo, s7
	v_and_b32_e32 v0, 0x88, v11
	s_mov_b32 s8, exec_lo
	s_delay_alu instid0(VALU_DEP_1)
	v_cmpx_eq_u32_e32 0x88, v0
	s_cbranch_execz .LBB7_242
; %bb.233:                              ;   in Loop: Header=BB7_4 Depth=1
	v_dual_add_nc_u32 v0, -1, v36 :: v_dual_bitop2_b32 v4, 64, v11 bitop3:0x40
	s_delay_alu instid0(VALU_DEP_1) | instskip(NEXT) | instid1(VALU_DEP_2)
	v_and_b32_e32 v0, 7, v0
	v_cmp_eq_u32_e64 s7, 0, v4
	s_delay_alu instid0(VALU_DEP_2)
	v_mul_hi_u32_u24_e32 v1, 24, v0
	v_mul_u32_u24_e32 v0, 24, v0
	flat_load_b64 v[2:3], v[0:1] offset:8 scope:SCOPE_SYS
	s_wait_loadcnt_dscnt 0x0
	v_cmp_ne_u64_e32 vcc_lo, -1, v[2:3]
	s_and_b32 s7, s7, vcc_lo
	s_wait_xcnt 0x0
	s_and_b32 exec_lo, exec_lo, s7
	s_cbranch_execz .LBB7_242
; %bb.234:                              ;   in Loop: Header=BB7_4 Depth=1
	s_mov_b32 s7, 0
	s_mov_b32 s11, 0
                                        ; implicit-def: $sgpr9
                                        ; implicit-def: $sgpr10
	s_branch .LBB7_236
.LBB7_235:                              ;   in Loop: Header=BB7_236 Depth=2
	s_wait_xcnt 0x0
	s_or_b32 exec_lo, exec_lo, s26
	s_delay_alu instid0(SALU_CYCLE_1) | instskip(NEXT) | instid1(SALU_CYCLE_1)
	s_and_b32 s12, exec_lo, s25
	s_or_b32 s7, s12, s7
	s_and_not1_b32 s9, s9, exec_lo
	s_and_b32 s12, s10, exec_lo
	s_delay_alu instid0(SALU_CYCLE_1)
	s_or_b32 s9, s9, s12
	s_and_not1_b32 exec_lo, exec_lo, s7
	s_cbranch_execz .LBB7_240
.LBB7_236:                              ;   Parent Loop BB7_4 Depth=1
                                        ; =>  This Inner Loop Header: Depth=2
	s_cmp_lt_i32 s11, 0x270f
	s_cselect_b32 s12, -1, 0
	s_delay_alu instid0(SALU_CYCLE_1)
	s_and_b32 vcc_lo, exec_lo, s12
	s_cbranch_vccnz .LBB7_238
; %bb.237:                              ;   in Loop: Header=BB7_236 Depth=2
	s_trap 2
	ds_load_b64 v[2:3], v0
	s_and_not1_b32 s12, s12, exec_lo
	s_mov_b32 s11, 0
	s_wait_storecnt_dscnt 0x0
	flat_load_b32 v2, v[2:3] scope:SCOPE_SYS
	s_wait_loadcnt_dscnt 0x0
	global_inv scope:SCOPE_SYS
	v_cmp_eq_u32_e32 vcc_lo, 0, v2
	s_and_b32 s25, vcc_lo, exec_lo
	s_delay_alu instid0(SALU_CYCLE_1)
	s_or_b32 s12, s12, s25
	s_mov_b32 s25, -1
	s_or_b32 s10, s10, exec_lo
	s_wait_xcnt 0x0
	s_and_saveexec_b32 s26, s12
	s_cbranch_execz .LBB7_235
	s_branch .LBB7_239
.LBB7_238:                              ;   in Loop: Header=BB7_236 Depth=2
	s_add_co_i32 s11, s11, 1
                                        ; implicit-def: $vgpr2
	s_mov_b32 s25, -1
	s_or_b32 s10, s10, exec_lo
	s_and_saveexec_b32 s26, s12
	s_cbranch_execz .LBB7_235
.LBB7_239:                              ;   in Loop: Header=BB7_236 Depth=2
	flat_load_b64 v[4:5], v[0:1] offset:8 scope:SCOPE_SYS
	s_wait_loadcnt 0x0
	s_and_not1_b32 s10, s10, exec_lo
	s_wait_dscnt 0x0
	v_cmp_eq_u64_e32 vcc_lo, -1, v[4:5]
	s_or_not1_b32 s25, vcc_lo, exec_lo
	s_branch .LBB7_235
.LBB7_240:                              ;   in Loop: Header=BB7_4 Depth=1
	s_or_b32 exec_lo, exec_lo, s7
	s_and_saveexec_b32 s7, s9
	s_delay_alu instid0(SALU_CYCLE_1)
	s_xor_b32 s7, exec_lo, s7
	s_cbranch_execz .LBB7_242
; %bb.241:                              ;   in Loop: Header=BB7_4 Depth=1
	s_wait_loadcnt 0x0
	s_wait_storecnt 0x0
	ds_store_b32 v0, v2
	s_trap 2
.LBB7_242:                              ;   in Loop: Header=BB7_4 Depth=1
	s_or_b32 exec_lo, exec_lo, s8
	v_cmp_ne_u32_e32 vcc_lo, 1, v24
	s_and_b32 exec_lo, exec_lo, vcc_lo
	s_cbranch_execz .LBB7_258
; %bb.243:                              ;   in Loop: Header=BB7_4 Depth=1
	s_and_saveexec_b32 s7, s6
	s_delay_alu instid0(SALU_CYCLE_1)
	s_xor_b32 s6, exec_lo, s7
	s_cbranch_execz .LBB7_256
; %bb.244:                              ;   in Loop: Header=BB7_4 Depth=1
	s_and_saveexec_b32 s7, s24
	s_cbranch_execz .LBB7_255
; %bb.245:                              ;   in Loop: Header=BB7_4 Depth=1
	global_wb scope:SCOPE_DEV
	s_wait_storecnt 0x0
	s_wait_loadcnt_dscnt 0x0
	global_inv scope:SCOPE_DEV
	s_wait_loadcnt 0x0
	ds_add_u64 v0, v[14:15] offset:856
	ds_load_b64 v[0:1], v0 offset:856
	s_wait_dscnt 0x0
	v_ashrrev_i32_e32 v25, 31, v24
	s_mov_b32 s8, exec_lo
	s_delay_alu instid0(VALU_DEP_1)
	v_cmpx_lt_u64_e64 v[0:1], v[24:25]
	s_cbranch_execz .LBB7_254
; %bb.246:                              ;   in Loop: Header=BB7_4 Depth=1
	s_mov_b32 s9, 0
	s_mov_b32 s12, 0
                                        ; implicit-def: $sgpr10
                                        ; implicit-def: $sgpr11
	s_branch .LBB7_248
.LBB7_247:                              ;   in Loop: Header=BB7_248 Depth=2
	s_or_b32 exec_lo, exec_lo, s26
	s_delay_alu instid0(SALU_CYCLE_1) | instskip(NEXT) | instid1(SALU_CYCLE_1)
	s_and_b32 s24, exec_lo, s25
	s_or_b32 s9, s24, s9
	s_and_not1_b32 s10, s10, exec_lo
	s_and_b32 s24, s11, exec_lo
	s_delay_alu instid0(SALU_CYCLE_1)
	s_or_b32 s10, s10, s24
	s_and_not1_b32 exec_lo, exec_lo, s9
	s_cbranch_execz .LBB7_252
.LBB7_248:                              ;   Parent Loop BB7_4 Depth=1
                                        ; =>  This Inner Loop Header: Depth=2
	s_add_co_i32 s12, s12, 1
	s_delay_alu instid0(SALU_CYCLE_1) | instskip(SKIP_1) | instid1(SALU_CYCLE_1)
	s_cmp_lg_u32 s12, 0x2710
	s_cselect_b32 s24, -1, 0
	s_and_b32 vcc_lo, exec_lo, s24
	s_cbranch_vccz .LBB7_250
; %bb.249:                              ;   in Loop: Header=BB7_248 Depth=2
	s_mov_b32 s25, -1
	s_or_b32 s11, s11, exec_lo
	s_and_saveexec_b32 s26, s24
	s_cbranch_execz .LBB7_247
	s_branch .LBB7_251
.LBB7_250:                              ;   in Loop: Header=BB7_248 Depth=2
	s_trap 2
	ds_load_b64 v[0:1], v0
	s_and_not1_b32 s24, s24, exec_lo
	s_mov_b32 s12, 0
	s_wait_dscnt 0x0
	flat_load_b32 v0, v[0:1] scope:SCOPE_SYS
	s_wait_loadcnt_dscnt 0x0
	global_inv scope:SCOPE_SYS
	v_cmp_eq_u32_e32 vcc_lo, 0, v0
	s_and_b32 s25, vcc_lo, exec_lo
	s_delay_alu instid0(SALU_CYCLE_1)
	s_or_b32 s24, s24, s25
	s_mov_b32 s25, -1
	s_or_b32 s11, s11, exec_lo
	s_wait_xcnt 0x0
	s_and_saveexec_b32 s26, s24
	s_cbranch_execz .LBB7_247
.LBB7_251:                              ;   in Loop: Header=BB7_248 Depth=2
	s_sleep 1
	ds_load_b64 v[0:1], v0 offset:856
	s_wait_dscnt 0x0
	s_and_not1_b32 s11, s11, exec_lo
	v_cmp_ge_u64_e32 vcc_lo, v[0:1], v[24:25]
	s_or_not1_b32 s25, vcc_lo, exec_lo
	s_branch .LBB7_247
.LBB7_252:                              ;   in Loop: Header=BB7_4 Depth=1
	s_or_b32 exec_lo, exec_lo, s9
	s_and_saveexec_b32 s9, s10
	s_delay_alu instid0(SALU_CYCLE_1)
	s_xor_b32 s9, exec_lo, s9
	s_cbranch_execz .LBB7_254
; %bb.253:                              ;   in Loop: Header=BB7_4 Depth=1
	ds_store_b32 v0, v70
	s_trap 2
.LBB7_254:                              ;   in Loop: Header=BB7_4 Depth=1
	s_or_b32 exec_lo, exec_lo, s8
	;;#ASMSTART
	s_wakeup
	;;#ASMEND
.LBB7_255:                              ;   in Loop: Header=BB7_4 Depth=1
	s_or_b32 exec_lo, exec_lo, s7
.LBB7_256:                              ;   in Loop: Header=BB7_4 Depth=1
	s_and_not1_saveexec_b32 s6, s6
	s_cbranch_execz .LBB7_258
; %bb.257:                              ;   in Loop: Header=BB7_4 Depth=1
	global_wb scope:SCOPE_DEV
	s_wait_storecnt 0x0
	s_wait_loadcnt_dscnt 0x0
	global_inv scope:SCOPE_DEV
	s_barrier_signal -1
	s_barrier_wait -1
.LBB7_258:                              ;   in Loop: Header=BB7_4 Depth=1
	s_or_b32 exec_lo, exec_lo, s23
                                        ; implicit-def: $vgpr2_vgpr3
                                        ; implicit-def: $vgpr8_vgpr9
                                        ; implicit-def: $vgpr6_vgpr7
                                        ; implicit-def: $vgpr24_vgpr25
                                        ; implicit-def: $vgpr4_vgpr5
.LBB7_259:                              ;   in Loop: Header=BB7_4 Depth=1
	s_and_not1_saveexec_b32 s6, s22
	s_cbranch_execz .LBB7_3
; %bb.260:                              ;   in Loop: Header=BB7_4 Depth=1
	v_sub_nc_u32_e64 v0, s20, 1 clamp
	v_add_nc_u64_e32 v[8:9], v[8:9], v[6:7]
	v_add_nc_u64_e32 v[6:7], v[4:5], v[2:3]
	s_mov_b32 s7, 1
	v_mov_b32_e32 v25, s20
	v_readfirstlane_b32 s6, v0
	v_and_b32_e32 v0, 0x3ffffe00, v24
	v_mov_b32_e32 v24, s21
	s_clause 0x1
	scratch_store_b128 off, v[4:7], s32
	scratch_store_b64 off, v[8:9], s32 offset:16
	s_clz_i32_u32 s6, s6
	s_delay_alu instid0(SALU_CYCLE_1) | instskip(NEXT) | instid1(SALU_CYCLE_1)
	s_sub_co_i32 s6, 32, s6
	s_lshl_b32 s6, 1, s6
	s_cmp_gt_u32 s20, 1
	s_cselect_b32 s11, s6, 1
	s_lshr_b32 s6, s20, 31
	v_dual_mov_b32 v1, v10 :: v_dual_mov_b32 v26, s11
	s_add_co_i32 s20, s20, s6
	s_clause 0x3
	scratch_store_b32 off, v0, s32 offset:24
	scratch_store_b96 off, v[24:26], s32 offset:32
	scratch_store_b32 off, v26, s32 offset:68
	scratch_store_b64 off, v[18:19], s32 offset:52
	s_ashr_i32 s9, s20, 1
	s_branch .LBB7_262
.LBB7_261:                              ;   in Loop: Header=BB7_262 Depth=2
	s_and_not1_b32 vcc_lo, exec_lo, s12
	s_cbranch_vccz .LBB7_266
.LBB7_262:                              ;   Parent Loop BB7_4 Depth=1
                                        ; =>  This Inner Loop Header: Depth=2
	s_mov_b32 s6, s7
	s_ashr_i32 s7, s7, 31
	s_wait_xcnt 0x5
	v_mov_b64_e32 v[6:7], 0
	s_wait_xcnt 0x0
	v_mul_u64_e32 v[4:5], s[6:7], v[2:3]
	s_mov_b32 s8, s11
	s_delay_alu instid0(VALU_DEP_1)
	v_cmp_lt_u64_e32 vcc_lo, v[0:1], v[4:5]
	s_cbranch_vccnz .LBB7_264
; %bb.263:                              ;   in Loop: Header=BB7_262 Depth=2
	v_cvt_f32_u32_e32 v5, v4
	v_sub_nc_u32_e32 v6, 0, v4
	s_delay_alu instid0(VALU_DEP_2) | instskip(SKIP_1) | instid1(TRANS32_DEP_1)
	v_rcp_iflag_f32_e32 v5, v5
	v_nop
	v_mul_f32_e32 v5, 0x4f7ffffe, v5
	s_delay_alu instid0(VALU_DEP_1) | instskip(NEXT) | instid1(VALU_DEP_1)
	v_cvt_u32_f32_e32 v5, v5
	v_mul_lo_u32 v6, v6, v5
	s_delay_alu instid0(VALU_DEP_1) | instskip(NEXT) | instid1(VALU_DEP_1)
	v_mul_hi_u32 v6, v5, v6
	v_add_nc_u32_e32 v5, v5, v6
	s_delay_alu instid0(VALU_DEP_1) | instskip(NEXT) | instid1(VALU_DEP_1)
	v_mul_hi_u32 v5, v0, v5
	v_mul_lo_u32 v6, v5, v4
	s_delay_alu instid0(VALU_DEP_1) | instskip(SKIP_1) | instid1(VALU_DEP_1)
	v_dual_sub_nc_u32 v6, v0, v6 :: v_dual_add_nc_u32 v7, 1, v5
	s_wait_xcnt 0x4
	v_sub_nc_u32_e32 v8, v6, v4
	v_cmp_ge_u32_e32 vcc_lo, v6, v4
	s_delay_alu instid0(VALU_DEP_2) | instskip(NEXT) | instid1(VALU_DEP_1)
	v_dual_cndmask_b32 v6, v6, v8 :: v_dual_cndmask_b32 v5, v5, v7
	v_cmp_ge_u32_e32 vcc_lo, v6, v4
	s_delay_alu instid0(VALU_DEP_2) | instskip(NEXT) | instid1(VALU_DEP_1)
	v_add_nc_u32_e32 v7, 1, v5
	v_dual_cndmask_b32 v6, v5, v7 :: v_dual_mov_b32 v7, v10
.LBB7_264:                              ;   in Loop: Header=BB7_262 Depth=2
	s_delay_alu instid0(VALU_DEP_1)
	v_cmp_gt_u64_e32 vcc_lo, 2, v[6:7]
	s_cmp_lt_i32 s6, s9
	s_mov_b32 s12, -1
	s_cselect_b32 s10, -1, 0
	s_cmp_ge_i32 s6, s9
                                        ; implicit-def: $sgpr11
	s_cselect_b32 s7, -1, 0
	s_delay_alu instid0(SALU_CYCLE_1) | instskip(NEXT) | instid1(SALU_CYCLE_1)
	s_or_b32 s7, s7, vcc_lo
	s_and_b32 vcc_lo, exec_lo, s7
                                        ; implicit-def: $sgpr7
	s_cbranch_vccnz .LBB7_261
; %bb.265:                              ;   in Loop: Header=BB7_262 Depth=2
	s_lshr_b32 s7, s8, 31
	s_mov_b32 s12, 0
	s_add_co_i32 s11, s8, s7
	s_lshl_b32 s7, s6, 1
	s_ashr_i32 s11, s11, 1
	s_delay_alu instid0(SALU_CYCLE_1)
	v_dual_mov_b32 v4, s7 :: v_dual_mov_b32 v5, s11
	s_clause 0x1
	scratch_store_b32 off, v4, s32 offset:56
	scratch_store_b32 off, v5, s32 offset:68
	s_branch .LBB7_261
.LBB7_266:                              ;   in Loop: Header=BB7_4 Depth=1
	s_wait_xcnt 0x1
	v_mov_b32_e32 v4, s6
	s_cmp_gt_i32 s6, 3
	s_mov_b32 s7, 4
	scratch_store_b32 off, v4, s32 offset:44
	s_cbranch_scc1 .LBB7_268
; %bb.267:                              ;   in Loop: Header=BB7_4 Depth=1
	s_wait_xcnt 0x0
	v_mov_b32_e32 v4, s6
	s_mov_b32 s7, s6
	scratch_store_b32 off, v4, s32 offset:52
.LBB7_268:                              ;   in Loop: Header=BB7_4 Depth=1
	s_and_not1_b32 vcc_lo, exec_lo, s10
	s_cbranch_vccnz .LBB7_273
; %bb.269:                              ;   in Loop: Header=BB7_4 Depth=1
	s_lshr_b32 s10, s8, 31
	s_delay_alu instid0(SALU_CYCLE_1)
	s_add_co_i32 s11, s8, s10
	s_lshl_b32 s10, s6, 1
	s_ashr_i32 s11, s11, 1
	s_wait_xcnt 0x0
	v_dual_mov_b32 v4, s10 :: v_dual_mov_b32 v5, s11
	s_cmp_ge_i32 s10, s9
	s_clause 0x1
	scratch_store_b32 off, v4, s32 offset:56
	scratch_store_b32 off, v5, s32 offset:68
	s_cbranch_scc1 .LBB7_272
; %bb.270:                              ;   in Loop: Header=BB7_4 Depth=1
	s_ashr_i32 s12, s8, 31
	s_delay_alu instid0(SALU_CYCLE_1) | instskip(NEXT) | instid1(SALU_CYCLE_1)
	s_lshr_b32 s10, s12, 30
	s_add_co_i32 s11, s8, s10
	s_lshl_b32 s10, s6, 2
	s_ashr_i32 s11, s11, 2
	s_wait_xcnt 0x0
	v_dual_mov_b32 v4, s10 :: v_dual_mov_b32 v5, s11
	s_cmp_ge_i32 s10, s9
	s_clause 0x1
	scratch_store_b32 off, v4, s32 offset:56
	scratch_store_b32 off, v5, s32 offset:68
	s_cbranch_scc1 .LBB7_272
; %bb.271:                              ;   in Loop: Header=BB7_4 Depth=1
	s_lshr_b32 s9, s12, 29
	s_lshl_b32 s10, s6, 3
	s_add_co_i32 s8, s8, s9
	s_delay_alu instid0(SALU_CYCLE_1)
	s_ashr_i32 s11, s8, 3
	s_wait_xcnt 0x0
	v_dual_mov_b32 v4, s10 :: v_dual_mov_b32 v5, s11
	s_clause 0x1
	scratch_store_b32 off, v4, s32 offset:56
	scratch_store_b32 off, v5, s32 offset:68
.LBB7_272:                              ;   in Loop: Header=BB7_4 Depth=1
	s_mov_b32 s6, s10
	s_mov_b32 s8, s11
.LBB7_273:                              ;   in Loop: Header=BB7_4 Depth=1
	s_wait_xcnt 0x0
	v_sub_nc_u32_e64 v4, s8, 1 clamp
	v_min_i64 v[6:7], v[0:1], v[2:3]
	v_mov_b32_e32 v0, 0
	s_delay_alu instid0(VALU_DEP_3) | instskip(SKIP_1) | instid1(SALU_CYCLE_1)
	v_readfirstlane_b32 s9, v4
	s_clz_i32_u32 s20, s9
	s_sub_co_i32 s11, 32, s20
	s_cmp_lt_u32 s8, 2
	s_cselect_b32 s8, -1, 0
	s_delay_alu instid0(SALU_CYCLE_1)
	s_and_b32 vcc_lo, s8, exec_lo
	s_cselect_b32 s9, 0, s11
	s_lshr_b32 s8, s6, 31
	s_add_co_i32 s10, s6, -2
	s_add_co_i32 s8, s6, s8
	v_dual_mov_b32 v5, v10 :: v_dual_mov_b32 v4, s9
	s_ashr_i32 s8, s8, 1
	s_cmp_lt_u32 s10, -3
	s_cselect_b32 s10, -1, 0
	s_delay_alu instid0(SALU_CYCLE_1) | instskip(SKIP_1) | instid1(SALU_CYCLE_1)
	s_and_b32 s12, s10, exec_lo
	s_cselect_b32 s12, 2, 1
	v_dual_mov_b32 v2, s8 :: v_dual_mov_b32 v3, s12
	s_mov_b32 s12, 0
	s_clause 0x1
	scratch_store_b32 off, v6, s32 offset:28
	scratch_store_b128 off, v[2:5], s32 offset:72
	s_cbranch_vccnz .LBB7_289
; %bb.274:                              ;   in Loop: Header=BB7_4 Depth=1
	s_cmp_eq_u32 s20, 31
	s_mov_b32 s20, -1
	s_cbranch_scc1 .LBB7_278
; %bb.275:                              ;   in Loop: Header=BB7_4 Depth=1
	s_and_b32 s12, s11, 62
	s_mov_b32 s20, s11
	s_mov_b32 s21, 1
	;; [unrolled: 1-line block ×5, first 2 shown]
.LBB7_276:                              ;   Parent Loop BB7_4 Depth=1
                                        ; =>  This Inner Loop Header: Depth=2
	s_sub_co_i32 s25, s20, s21
	s_sub_co_i32 s26, s11, s22
	s_delay_alu instid0(SALU_CYCLE_1)
	v_dual_mov_b32 v1, s25 :: v_dual_mov_b32 v0, s26
	s_add_co_i32 s23, s23, -2
	s_add_co_i32 s22, s22, 2
	s_add_co_i32 s21, s21, 2
	s_clause 0x1
	scratch_store_b64 off, v[0:1], s24 offset:-128
	scratch_store_b64 off, v[20:21], s24
	s_wait_xcnt 0x0
	s_add_co_i32 s24, s24, 8
	s_cmp_lg_u32 s23, 0
	s_cbranch_scc1 .LBB7_276
; %bb.277:                              ;   in Loop: Header=BB7_4 Depth=1
	s_cmp_lg_u32 s11, s12
	s_cselect_b32 s20, -1, 0
.LBB7_278:                              ;   in Loop: Header=BB7_4 Depth=1
	s_delay_alu instid0(SALU_CYCLE_1)
	s_and_b32 vcc_lo, exec_lo, s20
	s_cbranch_vccz .LBB7_281
; %bb.279:                              ;   in Loop: Header=BB7_4 Depth=1
	s_lshl_b32 s20, s12, 2
	s_sub_co_i32 s11, s11, s12
	s_add_co_i32 s20, s17, s20
.LBB7_280:                              ;   Parent Loop BB7_4 Depth=1
                                        ; =>  This Inner Loop Header: Depth=2
	v_mov_b32_e32 v0, s11
	s_add_co_i32 s11, s11, -1
	s_clause 0x1
	scratch_store_b32 off, v0, s20 offset:-128
	scratch_store_b32 off, v70, s20
	s_wait_xcnt 0x0
	s_add_co_i32 s20, s20, 4
	s_cmp_eq_u32 s11, 0
	s_cbranch_scc0 .LBB7_280
.LBB7_281:                              ;   in Loop: Header=BB7_4 Depth=1
	v_mov_b32_e32 v0, 0
	s_mov_b32 s11, 0
	s_mov_b32 s12, s17
	s_branch .LBB7_285
.LBB7_282:                              ;   in Loop: Header=BB7_285 Depth=2
	s_wait_xcnt 0x0
	s_or_b32 exec_lo, exec_lo, s23
	v_add_nc_u32_e32 v0, 1, v2
	scratch_store_b32 off, v0, s12
.LBB7_283:                              ;   in Loop: Header=BB7_285 Depth=2
	s_wait_xcnt 0x0
	s_or_b32 exec_lo, exec_lo, s21
	v_mov_b32_e32 v0, v1
.LBB7_284:                              ;   in Loop: Header=BB7_285 Depth=2
	s_or_b32 exec_lo, exec_lo, s20
	s_add_co_i32 s11, s11, 1
	s_add_co_i32 s12, s12, 4
	s_cmp_lg_u32 s9, s11
	s_cbranch_scc0 .LBB7_289
.LBB7_285:                              ;   Parent Loop BB7_4 Depth=1
                                        ; =>  This Inner Loop Header: Depth=2
	scratch_load_b32 v1, off, s12 offset:-128
	s_mov_b32 s20, exec_lo
	s_wait_loadcnt 0x0
	v_add_nc_u32_e32 v1, -1, v1
	scratch_store_b32 off, v1, s12 offset:-128
	s_wait_xcnt 0x0
	v_cmpx_eq_u32_e32 0, v1
	s_cbranch_execz .LBB7_284
; %bb.286:                              ;   in Loop: Header=BB7_285 Depth=2
	s_lshl_b32 s22, 1, s11
	s_mov_b32 s21, exec_lo
	v_dual_mov_b32 v3, s22 :: v_dual_bitop2_b32 v2, s22, v0 bitop3:0x40
	v_xor_b32_e32 v1, s22, v0
	scratch_store_b32 off, v1, s32 offset:84
	scratch_store_b32 off, v3, s12 offset:-128
	s_wait_xcnt 0x0
	v_cmpx_ne_u32_e32 0, v2
	s_cbranch_execz .LBB7_283
; %bb.287:                              ;   in Loop: Header=BB7_285 Depth=2
	scratch_load_b32 v2, off, s12
	s_mov_b32 s23, exec_lo
	s_wait_loadcnt 0x0
	v_ctz_i32_b32_e32 v3, v2
	v_cmp_eq_u32_e32 vcc_lo, 0, v2
	s_delay_alu instid0(VALU_DEP_2) | instskip(NEXT) | instid1(VALU_DEP_1)
	v_cndmask_b32_e64 v3, v3, s9, vcc_lo
	v_add3_u32 v3, s22, -1, v3
	scratch_store_b32 off, v3, s12 offset:-128
	s_wait_xcnt 0x0
	v_cmpx_eq_u32_e32 0, v3
	s_cbranch_execz .LBB7_282
; %bb.288:                              ;   in Loop: Header=BB7_285 Depth=2
	v_dual_mov_b32 v3, s22 :: v_dual_mov_b32 v1, v0
	scratch_store_b32 off, v0, s32 offset:84
	scratch_store_b32 off, v3, s12 offset:-128
	s_branch .LBB7_282
.LBB7_289:                              ;   in Loop: Header=BB7_4 Depth=1
	v_mov_b32_e32 v1, v10
	s_and_not1_b32 vcc_lo, exec_lo, s10
	scratch_store_b64 off, v[0:1], s32 offset:60
	s_cbranch_vccnz .LBB7_291
; %bb.290:                              ;   in Loop: Header=BB7_4 Depth=1
	s_lshl_b32 s9, s8, 1
	s_ashr_i32 s8, s8, 31
	s_abs_i32 s12, s6
	s_add_co_i32 s9, s9, s8
	s_ashr_i32 s6, s6, 31
	s_xor_b32 s9, s9, s8
	s_xor_b32 s6, s6, s8
	s_cvt_f32_u32 s10, s9
	s_sub_co_i32 s11, 0, s9
	s_wait_xcnt 0x0
	s_delay_alu instid0(SALU_CYCLE_1) | instskip(SKIP_1) | instid1(TRANS32_DEP_1)
	v_rcp_iflag_f32_e32 v0, s10
	v_nop
	v_readfirstlane_b32 s10, v0
	s_mul_f32 s10, s10, 0x4f7ffffe
	s_delay_alu instid0(SALU_CYCLE_3) | instskip(NEXT) | instid1(SALU_CYCLE_3)
	s_cvt_u32_f32 s10, s10
	s_mul_i32 s11, s11, s10
	s_delay_alu instid0(SALU_CYCLE_1) | instskip(NEXT) | instid1(SALU_CYCLE_1)
	s_mul_hi_u32 s11, s10, s11
	s_add_co_i32 s10, s10, s11
	s_delay_alu instid0(SALU_CYCLE_1) | instskip(NEXT) | instid1(SALU_CYCLE_1)
	s_mul_hi_u32 s10, s12, s10
	s_mul_i32 s11, s10, s9
	s_delay_alu instid0(SALU_CYCLE_1)
	s_sub_co_i32 s8, s12, s11
	s_add_co_i32 s11, s10, 1
	s_sub_co_i32 s12, s8, s9
	s_cmp_ge_u32 s8, s9
	s_cselect_b32 s10, s11, s10
	s_cselect_b32 s8, s12, s8
	s_add_co_i32 s11, s10, 1
	s_cmp_ge_u32 s8, s9
	s_cselect_b32 s8, s11, s10
	s_delay_alu instid0(SALU_CYCLE_1) | instskip(NEXT) | instid1(SALU_CYCLE_1)
	s_xor_b32 s8, s8, s6
	s_sub_co_i32 s6, s8, s6
.LBB7_291:                              ;   in Loop: Header=BB7_4 Depth=1
	s_wait_xcnt 0x0
	v_dual_mov_b32 v0, s6 :: v_dual_mov_b32 v1, s7
	s_mov_b32 s10, 0
	s_mov_b32 s11, 0
	scratch_store_b32 off, v0, s32 offset:48
	ds_store_b32 v0, v1
	s_trap 2
	s_branch .LBB7_294
.LBB7_292:                              ;   in Loop: Header=BB7_294 Depth=2
	s_or_b32 exec_lo, exec_lo, s6
	s_delay_alu instid0(SALU_CYCLE_1)
	s_and_not1_b32 s12, s12, exec_lo
.LBB7_293:                              ;   in Loop: Header=BB7_294 Depth=2
	s_or_b32 exec_lo, exec_lo, s8
	v_cndmask_b32_e64 v0, 1, 3, s7
	s_add_co_i32 s11, s11, 1
	s_and_b32 s6, exec_lo, s12
	s_delay_alu instid0(SALU_CYCLE_1)
	s_or_b32 s10, s6, s10
	ds_store_b32 v0, v0 offset:36
	s_and_not1_b32 exec_lo, exec_lo, s10
	s_cbranch_execz .LBB7_2
.LBB7_294:                              ;   Parent Loop BB7_4 Depth=1
                                        ; =>  This Loop Header: Depth=2
                                        ;       Child Loop BB7_295 Depth 3
                                        ;       Child Loop BB7_354 Depth 3
	;; [unrolled: 1-line block ×5, first 2 shown]
	s_trap 2
.LBB7_295:                              ;   Parent Loop BB7_4 Depth=1
                                        ;     Parent Loop BB7_294 Depth=2
                                        ; =>    This Inner Loop Header: Depth=3
	s_wait_xcnt 0x0
	ds_load_b32 v0, v0 offset:36
	s_wait_dscnt 0x0
	v_cmp_ne_u32_e32 vcc_lo, 0, v0
	s_cbranch_vccnz .LBB7_295
; %bb.296:                              ;   in Loop: Header=BB7_294 Depth=2
	s_clause 0x4
	scratch_load_b32 v25, off, s32 offset:64
	scratch_load_b32 v24, off, s32 offset:76
	;; [unrolled: 1-line block ×4, first 2 shown]
	scratch_load_b64 v[4:5], off, s32
	s_mov_b32 s7, -1
	s_mov_b32 s12, exec_lo
	s_wait_loadcnt 0x1
	ds_store_2addr_b32 v0, v11, v10 offset0:7 offset1:8
	s_wait_loadcnt 0x0
	ds_store_b64 v0, v[4:5] offset:40
	s_wait_xcnt 0x0
	v_cmpx_lt_i32_e64 v25, v26
	s_cbranch_execz .LBB7_332
; %bb.297:                              ;   in Loop: Header=BB7_294 Depth=2
                                        ; implicit-def: $sgpr21
	s_mov_b32 s6, exec_lo
	v_cmpx_lt_i32_e32 0, v24
	s_xor_b32 s20, exec_lo, s6
	s_cbranch_execz .LBB7_325
; %bb.298:                              ;   in Loop: Header=BB7_294 Depth=2
                                        ; implicit-def: $sgpr21
	s_mov_b32 s6, exec_lo
	v_cmpx_lt_i32_e32 1, v24
	s_xor_b32 s7, exec_lo, s6
	s_cbranch_execz .LBB7_310
; %bb.299:                              ;   in Loop: Header=BB7_294 Depth=2
	s_mov_b32 s21, 0
	s_mov_b32 s8, exec_lo
	v_cmpx_eq_u32_e32 2, v24
	s_cbranch_execz .LBB7_309
; %bb.300:                              ;   in Loop: Header=BB7_294 Depth=2
	s_clause 0x1
	scratch_load_b32 v6, off, s32 offset:44
	scratch_load_b64 v[2:3], off, s32 offset:68
	v_ashrrev_i32_e32 v28, 31, v25
	s_mov_b32 s6, exec_lo
                                        ; implicit-def: $vgpr29
                                        ; implicit-def: $vgpr30
	s_wait_loadcnt 0x1
	v_sub_nc_u32_e32 v0, 0, v6
	s_delay_alu instid0(VALU_DEP_1) | instskip(NEXT) | instid1(VALU_DEP_1)
	v_max_i32_e32 v7, v6, v0
	v_cvt_f32_u32_e32 v0, v7
	s_delay_alu instid0(VALU_DEP_1) | instskip(SKIP_1) | instid1(TRANS32_DEP_1)
	v_rcp_iflag_f32_e32 v0, v0
	v_nop
	v_dual_mul_f32 v0, 0x4f7ffffe, v0 :: v_dual_sub_nc_u32 v1, 0, v7
	v_sub_nc_u32_e32 v8, 0, v25
	s_delay_alu instid0(VALU_DEP_2) | instskip(NEXT) | instid1(VALU_DEP_1)
	v_cvt_u32_f32_e32 v0, v0
	v_mul_lo_u32 v1, v1, v0
	s_delay_alu instid0(VALU_DEP_1) | instskip(NEXT) | instid1(VALU_DEP_1)
	v_mul_hi_u32 v1, v0, v1
	v_dual_add_nc_u32 v0, v0, v1 :: v_dual_max_i32 v8, v25, v8
	s_delay_alu instid0(VALU_DEP_1) | instskip(NEXT) | instid1(VALU_DEP_1)
	v_mul_hi_u32 v1, v8, v0
	v_mul_lo_u32 v9, v1, v7
	s_delay_alu instid0(VALU_DEP_1) | instskip(NEXT) | instid1(VALU_DEP_1)
	v_sub_nc_u32_e32 v9, v8, v9
	v_cmp_ge_u32_e32 vcc_lo, v9, v7
	v_add_nc_u32_e32 v8, 1, v1
	s_delay_alu instid0(VALU_DEP_1) | instskip(SKIP_1) | instid1(VALU_DEP_1)
	v_cndmask_b32_e32 v1, v1, v8, vcc_lo
	v_dual_sub_nc_u32 v27, v9, v7 :: v_dual_ashrrev_i32 v8, 31, v6
	v_dual_cndmask_b32 v9, v9, v27, vcc_lo :: v_dual_add_nc_u32 v27, 1, v1
	s_delay_alu instid0(VALU_DEP_2) | instskip(NEXT) | instid1(VALU_DEP_2)
	v_xor_b32_e32 v28, v28, v8
	v_cmp_ge_u32_e32 vcc_lo, v9, v7
	s_wait_loadcnt 0x0
	v_mul_lo_u32 v9, v2, v3
	v_cndmask_b32_e32 v1, v1, v27, vcc_lo
	s_delay_alu instid0(VALU_DEP_1) | instskip(NEXT) | instid1(VALU_DEP_1)
	v_xor_b32_e32 v1, v1, v28
	v_dual_sub_nc_u32 v27, v1, v28 :: v_dual_lshlrev_b32 v1, 1, v25
	s_delay_alu instid0(VALU_DEP_1) | instskip(NEXT) | instid1(VALU_DEP_1)
	v_mul_lo_u32 v3, v27, v6
	v_dual_sub_nc_u32 v28, v25, v3 :: v_dual_bitop2_b32 v2, 1, v1 bitop3:0x54
	s_delay_alu instid0(VALU_DEP_1) | instskip(SKIP_2) | instid1(VALU_DEP_1)
	v_mul_lo_u32 v2, v9, v2
	v_add_nc_u32_e32 v3, -1, v6
	s_wait_xcnt 0x0
	v_cmpx_ne_u32_e64 v28, v3
	s_xor_b32 s6, exec_lo, s6
	s_cbranch_execz .LBB7_302
; %bb.301:                              ;   in Loop: Header=BB7_294 Depth=2
	scratch_load_b32 v30, off, s32 offset:36
	v_lshl_add_u32 v3, v9, 1, v2
	s_wait_loadcnt 0x0
	s_delay_alu instid0(VALU_DEP_1)
	v_cmp_ge_i32_e32 vcc_lo, v3, v30
	v_cndmask_b32_e64 v29, 0, 1, vcc_lo
.LBB7_302:                              ;   in Loop: Header=BB7_294 Depth=2
	s_wait_xcnt 0x0
	s_and_not1_saveexec_b32 s6, s6
	s_cbranch_execz .LBB7_304
; %bb.303:                              ;   in Loop: Header=BB7_294 Depth=2
	scratch_load_b32 v30, off, s32 offset:36
	v_mov_b32_e32 v29, 1
.LBB7_304:                              ;   in Loop: Header=BB7_294 Depth=2
	s_wait_xcnt 0x0
	s_or_b32 exec_lo, exec_lo, s6
	s_clause 0x2
	scratch_load_b32 v3, off, s32 offset:40
	scratch_load_b32 v31, off, s32 offset:32
	scratch_load_b64 v[32:33], off, s32 offset:16
	s_wait_loadcnt 0x3
	v_sub_nc_u32_e32 v34, 0, v30
	v_ctz_i32_b32_e32 v37, v2
	v_cmp_eq_u32_e32 vcc_lo, 0, v9
	v_mul_lo_u32 v28, v28, v11
	s_mov_b32 s9, exec_lo
	s_wait_loadcnt 0x2
	v_dual_cndmask_b32 v3, v37, v3 :: v_dual_max_i32 v34, v30, v34
	s_delay_alu instid0(VALU_DEP_1) | instskip(NEXT) | instid1(VALU_DEP_2)
	v_cvt_f32_u32_e32 v35, v34
	v_lshl_add_u32 v37, -1, v3, v2
	s_delay_alu instid0(VALU_DEP_2) | instskip(SKIP_1) | instid1(VALU_DEP_1)
	v_rcp_iflag_f32_e32 v35, v35
	s_wait_loadcnt 0x1
	v_add3_u32 v31, v37, v30, v31
	s_delay_alu instid0(TRANS32_DEP_1) | instskip(NEXT) | instid1(VALU_DEP_2)
	v_dual_mul_f32 v35, 0x4f7ffffe, v35 :: v_dual_sub_nc_u32 v36, 0, v34
	v_sub_nc_u32_e32 v38, 0, v31
	s_delay_alu instid0(VALU_DEP_2) | instskip(NEXT) | instid1(VALU_DEP_2)
	v_cvt_u32_f32_e32 v35, v35
	v_dual_ashrrev_i32 v31, 31, v31 :: v_dual_max_i32 v38, v31, v38
	s_delay_alu instid0(VALU_DEP_2) | instskip(NEXT) | instid1(VALU_DEP_1)
	v_mul_lo_u32 v36, v36, v35
	v_mul_hi_u32 v36, v35, v36
	s_delay_alu instid0(VALU_DEP_1) | instskip(NEXT) | instid1(VALU_DEP_1)
	v_add_nc_u32_e32 v35, v35, v36
	v_mul_hi_u32 v35, v38, v35
	s_delay_alu instid0(VALU_DEP_1) | instskip(NEXT) | instid1(VALU_DEP_1)
	v_mul_lo_u32 v35, v35, v34
	v_sub_nc_u32_e32 v35, v38, v35
	s_delay_alu instid0(VALU_DEP_1) | instskip(SKIP_1) | instid1(VALU_DEP_2)
	v_sub_nc_u32_e32 v36, v35, v34
	v_cmp_ge_u32_e32 vcc_lo, v35, v34
	v_cndmask_b32_e32 v35, v35, v36, vcc_lo
	s_delay_alu instid0(VALU_DEP_1) | instskip(SKIP_1) | instid1(VALU_DEP_2)
	v_sub_nc_u32_e32 v36, v35, v34
	v_cmp_ge_u32_e32 vcc_lo, v35, v34
	v_cndmask_b32_e32 v34, v35, v36, vcc_lo
	v_cmp_ge_i32_e32 vcc_lo, v2, v30
	v_ctz_i32_b32_e32 v2, v37
	s_delay_alu instid0(VALU_DEP_3) | instskip(NEXT) | instid1(VALU_DEP_1)
	v_xor_b32_e32 v34, v34, v31
	v_sub_nc_u32_e32 v31, v34, v31
	s_wait_loadcnt 0x0
	s_delay_alu instid0(VALU_DEP_1) | instskip(NEXT) | instid1(VALU_DEP_1)
	v_mad_nc_u64_u32 v[34:35], v32, v31, v[4:5]
	v_mad_u32 v33, v33, v31, v35
	v_ashrrev_i32_e32 v31, 31, v31
	s_delay_alu instid0(VALU_DEP_1)
	v_mad_u32 v35, v32, v31, v33
	ds_store_2addr_b32 v0, v10, v29 offset0:5 offset1:6
	ds_store_2addr_b32 v0, v28, v27 offset0:3 offset1:4
	ds_store_2addr_b64 v0, v[2:3], v[34:35] offset1:6
	s_wait_xcnt 0x0
	v_cmpx_ne_u32_e32 0, v37
	s_xor_b32 s9, exec_lo, s9
	s_cbranch_execz .LBB7_306
; %bb.305:                              ;   in Loop: Header=BB7_294 Depth=2
	v_mul_lo_u32 v1, v9, v1
	v_dual_mov_b32 v3, v10 :: v_dual_add_nc_u32 v2, 1, v2
	s_delay_alu instid0(VALU_DEP_1) | instskip(NEXT) | instid1(VALU_DEP_1)
	v_ashrrev_i32_e32 v9, v2, v1
	v_dual_mov_b32 v1, v10 :: v_dual_sub_nc_u32 v2, 0, v9
	s_delay_alu instid0(VALU_DEP_1) | instskip(NEXT) | instid1(VALU_DEP_1)
	v_max_i32_e32 v2, v9, v2
	v_mul_u64_e32 v[0:1], v[2:3], v[0:1]
	s_delay_alu instid0(VALU_DEP_1) | instskip(NEXT) | instid1(VALU_DEP_1)
	v_mul_lo_u32 v0, v1, v7
	v_sub_nc_u32_e32 v0, v2, v0
	s_delay_alu instid0(VALU_DEP_1) | instskip(SKIP_1) | instid1(VALU_DEP_1)
	v_sub_nc_u32_e32 v3, v0, v7
	v_cmp_ge_u32_e64 s6, v0, v7
	v_dual_add_nc_u32 v2, 1, v1 :: v_dual_cndmask_b32 v0, v0, v3, s6
	s_delay_alu instid0(VALU_DEP_1) | instskip(NEXT) | instid1(VALU_DEP_2)
	v_dual_cndmask_b32 v1, v1, v2, s6 :: v_dual_ashrrev_i32 v2, 31, v9
	v_cmp_ge_u32_e64 s6, v0, v7
	s_delay_alu instid0(VALU_DEP_2) | instskip(NEXT) | instid1(VALU_DEP_1)
	v_dual_add_nc_u32 v3, 1, v1 :: v_dual_bitop2_b32 v2, v2, v8 bitop3:0x14
	v_cndmask_b32_e64 v0, v1, v3, s6
	s_delay_alu instid0(VALU_DEP_1) | instskip(NEXT) | instid1(VALU_DEP_1)
	v_xor_b32_e32 v0, v0, v2
	v_sub_nc_u32_e32 v0, v0, v2
	s_delay_alu instid0(VALU_DEP_1) | instskip(NEXT) | instid1(VALU_DEP_1)
	v_mul_lo_u32 v1, v0, v6
	v_sub_nc_u32_e32 v1, v9, v1
	s_delay_alu instid0(VALU_DEP_1)
	v_mul_lo_u32 v1, v1, v11
	ds_store_2addr_b32 v0, v1, v0 offset0:2 offset1:4
.LBB7_306:                              ;   in Loop: Header=BB7_294 Depth=2
	s_and_not1_saveexec_b32 s6, s9
; %bb.307:                              ;   in Loop: Header=BB7_294 Depth=2
	ds_store_b32 v0, v71 offset:8
; %bb.308:                              ;   in Loop: Header=BB7_294 Depth=2
	s_or_b32 exec_lo, exec_lo, s6
	s_delay_alu instid0(SALU_CYCLE_1)
	s_and_b32 s21, vcc_lo, exec_lo
.LBB7_309:                              ;   in Loop: Header=BB7_294 Depth=2
	s_or_b32 exec_lo, exec_lo, s8
                                        ; implicit-def: $vgpr11
.LBB7_310:                              ;   in Loop: Header=BB7_294 Depth=2
	s_and_not1_saveexec_b32 s22, s7
	s_cbranch_execz .LBB7_324
; %bb.311:                              ;   in Loop: Header=BB7_294 Depth=2
	s_clause 0x3
	scratch_load_b128 v[0:3], off, s32 offset:32
	scratch_load_b32 v6, off, s32 offset:68
	scratch_load_b32 v9, off, s32 offset:60
	scratch_load_b64 v[32:33], off, s32 offset:16
	s_wait_loadcnt 0x3
	v_dual_sub_nc_u32 v7, 0, v1 :: v_dual_sub_nc_u32 v8, 0, v3
	s_wait_loadcnt 0x2
	v_mul_lo_u32 v30, v6, v25
	s_wait_loadcnt 0x1
	s_delay_alu instid0(VALU_DEP_1) | instskip(NEXT) | instid1(VALU_DEP_1)
	v_dual_add_nc_u32 v27, v30, v9 :: v_dual_max_i32 v34, v1, v7
	v_dual_sub_nc_u32 v35, 0, v34 :: v_dual_max_i32 v29, v3, v8
	v_cvt_f32_u32_e32 v7, v34
	s_delay_alu instid0(VALU_DEP_3) | instskip(NEXT) | instid1(VALU_DEP_3)
	v_ctz_i32_b32_e32 v28, v27
	v_cvt_f32_u32_e32 v8, v29
	v_cmp_eq_u32_e32 vcc_lo, 0, v27
	s_delay_alu instid0(VALU_DEP_4) | instskip(SKIP_1) | instid1(VALU_DEP_3)
	v_rcp_iflag_f32_e32 v7, v7
	v_add_nc_u32_e32 v6, v27, v6
	v_rcp_iflag_f32_e32 v8, v8
	s_delay_alu instid0(VALU_DEP_1) | instskip(NEXT) | instid1(TRANS32_DEP_2)
	v_cmp_ge_i32_e64 s7, v6, v1
	v_mul_f32_e32 v31, 0x4f7ffffe, v7
	v_dual_cndmask_b32 v7, v28, v2 :: v_dual_sub_nc_u32 v28, 0, v29
	s_delay_alu instid0(TRANS32_DEP_1) | instskip(NEXT) | instid1(VALU_DEP_3)
	v_mul_f32_e32 v8, 0x4f7ffffe, v8
	v_cvt_u32_f32_e32 v2, v31
	s_delay_alu instid0(VALU_DEP_3) | instskip(SKIP_1) | instid1(VALU_DEP_4)
	v_lshlrev_b32_e64 v31, v7, -1
	v_cmp_ne_u32_e64 s6, 0, v7
	v_cvt_u32_f32_e32 v8, v8
	s_delay_alu instid0(VALU_DEP_4) | instskip(NEXT) | instid1(VALU_DEP_2)
	v_mul_lo_u32 v35, v35, v2
	v_mul_lo_u32 v36, v28, v8
	v_add_nc_u32_e32 v28, v31, v27
	s_delay_alu instid0(VALU_DEP_1) | instskip(NEXT) | instid1(VALU_DEP_4)
	v_add3_u32 v0, v0, v1, v28
	v_mul_hi_u32 v35, v2, v35
	v_sub_nc_u32_e32 v38, 0, v25
	v_mul_hi_u32 v36, v8, v36
	s_delay_alu instid0(VALU_DEP_3) | instskip(NEXT) | instid1(VALU_DEP_2)
	v_dual_sub_nc_u32 v37, 0, v0 :: v_dual_add_nc_u32 v2, v2, v35
	v_dual_add_nc_u32 v8, v8, v36 :: v_dual_max_i32 v35, v25, v38
	s_delay_alu instid0(VALU_DEP_1) | instskip(NEXT) | instid1(VALU_DEP_1)
	v_mul_hi_u32 v36, v35, v8
	v_mul_lo_u32 v38, v36, v29
	s_delay_alu instid0(VALU_DEP_1) | instskip(NEXT) | instid1(VALU_DEP_1)
	v_dual_sub_nc_u32 v35, v35, v38 :: v_dual_max_i32 v37, v0, v37
	v_mul_hi_u32 v2, v37, v2
	v_dual_ashrrev_i32 v38, 31, v25 :: v_dual_add_nc_u32 v48, 1, v36
	s_delay_alu instid0(VALU_DEP_3) | instskip(NEXT) | instid1(VALU_DEP_3)
	v_sub_nc_u32_e32 v49, v35, v29
	v_mul_lo_u32 v2, v2, v34
	s_delay_alu instid0(VALU_DEP_1) | instskip(NEXT) | instid1(VALU_DEP_1)
	v_dual_sub_nc_u32 v37, v37, v2 :: v_dual_ashrrev_i32 v2, 31, v3
	v_sub_nc_u32_e32 v39, v37, v34
	v_cmp_ge_u32_e32 vcc_lo, v37, v34
	s_delay_alu instid0(VALU_DEP_2) | instskip(SKIP_2) | instid1(VALU_DEP_3)
	v_cndmask_b32_e32 v37, v37, v39, vcc_lo
	v_cmp_ge_u32_e32 vcc_lo, v35, v29
	v_dual_cndmask_b32 v35, v35, v49, vcc_lo :: v_dual_bitop2_b32 v38, v38, v2 bitop3:0x14
	v_dual_cndmask_b32 v36, v36, v48 :: v_dual_sub_nc_u32 v39, v37, v34
	v_cmp_ge_u32_e32 vcc_lo, v37, v34
	s_delay_alu instid0(VALU_DEP_2) | instskip(NEXT) | instid1(VALU_DEP_3)
	v_add_nc_u32_e32 v48, 1, v36
	v_dual_ashrrev_i32 v0, 31, v0 :: v_dual_cndmask_b32 v34, v37, v39, vcc_lo
	v_cmp_ge_u32_e32 vcc_lo, v35, v29
	s_delay_alu instid0(VALU_DEP_3) | instskip(SKIP_1) | instid1(VALU_DEP_2)
	v_cndmask_b32_e32 v35, v36, v48, vcc_lo
	v_cmp_gt_i32_e32 vcc_lo, v6, v1
	v_xor_b32_e32 v35, v35, v38
	v_xor_b32_e32 v34, v34, v0
	v_cndmask_b32_e64 v39, 0, 1, vcc_lo
	v_cmp_eq_u32_e32 vcc_lo, 0, v7
	s_delay_alu instid0(VALU_DEP_3) | instskip(SKIP_1) | instid1(VALU_DEP_2)
	v_dual_sub_nc_u32 v37, v35, v38 :: v_dual_sub_nc_u32 v36, v34, v0
	v_cndmask_b32_e64 v48, 0, 1, vcc_lo
	v_mul_lo_u32 v38, v37, v3
	s_wait_loadcnt 0x0
	s_delay_alu instid0(VALU_DEP_3) | instskip(NEXT) | instid1(VALU_DEP_2)
	v_mad_nc_u64_u32 v[34:35], v32, v36, v[4:5]
	v_dual_add_nc_u32 v0, -1, v3 :: v_dual_sub_nc_u32 v38, v25, v38
	s_delay_alu instid0(VALU_DEP_2) | instskip(NEXT) | instid1(VALU_DEP_2)
	v_mad_u32 v33, v33, v36, v35
	v_cmp_ne_u32_e64 s8, v38, v0
	v_cmp_eq_u32_e64 s9, v38, v0
	s_and_b32 s8, vcc_lo, s8
	v_ashrrev_i32_e32 v6, 31, v36
	v_mul_lo_u32 v36, v38, v11
	s_or_b32 s7, s9, s7
	s_delay_alu instid0(SALU_CYCLE_1) | instskip(NEXT) | instid1(VALU_DEP_3)
	v_cndmask_b32_e64 v38, 0, 1, s7
	v_mad_u32 v35, v32, v6, v33
	v_cndmask_b32_e64 v33, v48, v39, s8
	v_ctz_i32_b32_e32 v6, v28
	v_cndmask_b32_e64 v32, v37, 0, vcc_lo
	s_mov_b32 s8, exec_lo
	s_delay_alu instid0(VALU_DEP_3)
	v_dual_mov_b32 v37, v36 :: v_dual_bitop2_b32 v33, 1, v33 bitop3:0x40
	ds_store_b64 v0, v[34:35] offset:48
	ds_store_b32 v0, v38 offset:24
	ds_store_2addr_b64 v0, v[6:7], v[36:37] offset1:1
	ds_store_b64 v0, v[32:33] offset:16
	s_wait_xcnt 0x0
	v_cmpx_ne_u32_e32 0, v28
	s_xor_b32 s8, exec_lo, s8
	s_cbranch_execz .LBB7_319
; %bb.312:                              ;   in Loop: Header=BB7_294 Depth=2
	v_sub_nc_u32_e32 v7, 0, v9
	s_mov_b32 s9, exec_lo
	s_delay_alu instid0(VALU_DEP_1)
	v_cmpx_eq_u32_e64 v31, v7
	s_cbranch_execz .LBB7_318
; %bb.313:                              ;   in Loop: Header=BB7_294 Depth=2
	v_dual_add_nc_u32 v7, 1, v6 :: v_dual_mov_b32 v9, v10
	s_delay_alu instid0(VALU_DEP_1) | instskip(NEXT) | instid1(VALU_DEP_1)
	v_dual_mov_b32 v31, v10 :: v_dual_ashrrev_i32 v7, v7, v30
	v_sub_nc_u32_e32 v30, 0, v7
	s_delay_alu instid0(VALU_DEP_1) | instskip(NEXT) | instid1(VALU_DEP_1)
	v_max_i32_e32 v30, v7, v30
	v_mul_u64_e32 v[8:9], v[30:31], v[8:9]
	s_delay_alu instid0(VALU_DEP_1) | instskip(NEXT) | instid1(VALU_DEP_1)
	v_mul_lo_u32 v8, v9, v29
	v_dual_sub_nc_u32 v8, v30, v8 :: v_dual_add_nc_u32 v30, 1, v9
	s_delay_alu instid0(VALU_DEP_1) | instskip(SKIP_1) | instid1(VALU_DEP_1)
	v_sub_nc_u32_e32 v31, v8, v29
	v_cmp_ge_u32_e64 s7, v8, v29
	v_dual_cndmask_b32 v9, v9, v30, s7 :: v_dual_ashrrev_i32 v30, 31, v7
	s_delay_alu instid0(VALU_DEP_1) | instskip(NEXT) | instid1(VALU_DEP_2)
	v_dual_cndmask_b32 v8, v8, v31, s7 :: v_dual_add_nc_u32 v31, 1, v9
	v_xor_b32_e32 v2, v30, v2
	s_delay_alu instid0(VALU_DEP_2) | instskip(NEXT) | instid1(VALU_DEP_1)
	v_cmp_ge_u32_e64 s7, v8, v29
	v_cndmask_b32_e64 v8, v9, v31, s7
	s_delay_alu instid0(VALU_DEP_1) | instskip(NEXT) | instid1(VALU_DEP_1)
	v_xor_b32_e32 v8, v8, v2
	v_sub_nc_u32_e32 v2, v8, v2
	s_delay_alu instid0(VALU_DEP_1) | instskip(NEXT) | instid1(VALU_DEP_1)
	v_mul_lo_u32 v3, v2, v3
	v_sub_nc_u32_e32 v8, v7, v3
	s_delay_alu instid0(VALU_DEP_1) | instskip(SKIP_2) | instid1(SALU_CYCLE_1)
	v_mul_lo_u32 v3, v8, v11
	ds_store_b32 v0, v3 offset:8
	s_and_saveexec_b32 s7, s6
	s_xor_b32 s6, exec_lo, s7
; %bb.314:                              ;   in Loop: Header=BB7_294 Depth=2
                                        ; implicit-def: $vgpr8
                                        ; implicit-def: $vgpr0
                                        ; implicit-def: $vgpr7
                                        ; implicit-def: $vgpr6
; %bb.315:                              ;   in Loop: Header=BB7_294 Depth=2
	s_delay_alu instid0(SALU_CYCLE_1)
	s_or_saveexec_b32 s23, s6
	v_mov_b32_e32 v3, 0
	s_xor_b32 exec_lo, exec_lo, s23
; %bb.316:                              ;   in Loop: Header=BB7_294 Depth=2
	v_lshlrev_b32_e32 v2, 1, v7
	v_cmp_eq_u32_e64 s6, v8, v0
	s_delay_alu instid0(VALU_DEP_2) | instskip(NEXT) | instid1(VALU_DEP_1)
	v_add_lshl_u32 v2, v2, 3, v6
	v_cmp_ge_i32_e64 s7, v2, v1
	v_mov_b32_e32 v2, 0
	s_or_b32 s6, s6, s7
	s_delay_alu instid0(SALU_CYCLE_1)
	v_cndmask_b32_e64 v3, 0, 1, s6
; %bb.317:                              ;   in Loop: Header=BB7_294 Depth=2
	s_or_b32 exec_lo, exec_lo, s23
	ds_store_b64 v0, v[2:3] offset:16
.LBB7_318:                              ;   in Loop: Header=BB7_294 Depth=2
	s_or_b32 exec_lo, exec_lo, s9
.LBB7_319:                              ;   in Loop: Header=BB7_294 Depth=2
	s_and_not1_saveexec_b32 s6, s8
; %bb.320:                              ;   in Loop: Header=BB7_294 Depth=2
	ds_store_2addr_b32 v0, v71, v10 offset0:2 offset1:5
; %bb.321:                              ;   in Loop: Header=BB7_294 Depth=2
	s_or_b32 exec_lo, exec_lo, s6
	v_cmp_ge_i32_e64 s7, v27, v1
	v_cmp_lt_i32_e64 s6, v28, v1
	s_and_b32 s6, s7, s6
	s_delay_alu instid0(SALU_CYCLE_1) | instskip(NEXT) | instid1(SALU_CYCLE_1)
	s_and_b32 s8, vcc_lo, s6
	s_and_saveexec_b32 s6, s8
	s_cbranch_execz .LBB7_323
; %bb.322:                              ;   in Loop: Header=BB7_294 Depth=2
	s_and_not1_b32 s7, s7, exec_lo
	ds_store_2addr_b32 v0, v71, v71 offset0:1 offset1:3
	ds_store_b32 v0, v10 offset:24
.LBB7_323:                              ;   in Loop: Header=BB7_294 Depth=2
	s_or_b32 exec_lo, exec_lo, s6
	s_delay_alu instid0(SALU_CYCLE_1) | instskip(SKIP_1) | instid1(SALU_CYCLE_1)
	s_and_not1_b32 s6, s21, exec_lo
	s_and_b32 s7, s7, exec_lo
	s_or_b32 s21, s6, s7
.LBB7_324:                              ;   in Loop: Header=BB7_294 Depth=2
	s_or_b32 exec_lo, exec_lo, s22
                                        ; implicit-def: $vgpr11
.LBB7_325:                              ;   in Loop: Header=BB7_294 Depth=2
	s_and_not1_saveexec_b32 s6, s20
	s_cbranch_execz .LBB7_331
; %bb.326:                              ;   in Loop: Header=BB7_294 Depth=2
	s_mov_b32 s8, 0
	s_mov_b32 s7, exec_lo
	v_cmpx_eq_u32_e32 0, v24
	s_cbranch_execz .LBB7_330
; %bb.327:                              ;   in Loop: Header=BB7_294 Depth=2
	s_clause 0x4
	scratch_load_b64 v[0:1], off, s32 offset:32
	scratch_load_b32 v27, off, s32 offset:44
	scratch_load_b32 v2, off, s32 offset:68
	;; [unrolled: 1-line block ×3, first 2 shown]
	scratch_load_b64 v[6:7], off, s32 offset:16
	s_mov_b32 s8, exec_lo
	s_wait_loadcnt 0x3
	v_dual_sub_nc_u32 v8, 0, v1 :: v_dual_sub_nc_u32 v28, 0, v27
	s_wait_loadcnt 0x1
	v_mad_u32 v3, v2, v25, v3
	s_delay_alu instid0(VALU_DEP_2) | instskip(NEXT) | instid1(VALU_DEP_1)
	v_max_i32_e32 v8, v1, v8
	v_cvt_f32_u32_e32 v9, v8
	s_delay_alu instid0(VALU_DEP_3) | instskip(NEXT) | instid1(VALU_DEP_2)
	v_add_nc_u32_e32 v0, v0, v3
	v_rcp_iflag_f32_e32 v9, v9
	s_delay_alu instid0(VALU_DEP_1) | instskip(NEXT) | instid1(TRANS32_DEP_1)
	v_sub_nc_u32_e32 v31, 0, v0
	v_mul_f32_e32 v9, 0x4f7ffffe, v9
	s_delay_alu instid0(VALU_DEP_2) | instskip(SKIP_1) | instid1(VALU_DEP_3)
	v_dual_sub_nc_u32 v29, 0, v8 :: v_dual_max_i32 v31, v0, v31
	v_ashrrev_i32_e32 v0, 31, v0
	v_cvt_u32_f32_e32 v9, v9
	s_delay_alu instid0(VALU_DEP_1) | instskip(NEXT) | instid1(VALU_DEP_1)
	v_mul_lo_u32 v29, v29, v9
	v_mul_hi_u32 v29, v9, v29
	s_delay_alu instid0(VALU_DEP_1) | instskip(NEXT) | instid1(VALU_DEP_1)
	v_dual_add_nc_u32 v9, v9, v29 :: v_dual_max_i32 v28, v27, v28
	v_cvt_f32_u32_e32 v30, v28
	v_sub_nc_u32_e32 v32, 0, v28
	s_delay_alu instid0(VALU_DEP_3) | instskip(NEXT) | instid1(VALU_DEP_3)
	v_mul_hi_u32 v9, v31, v9
	v_rcp_iflag_f32_e32 v30, v30
	v_nop
	s_delay_alu instid0(TRANS32_DEP_1) | instskip(NEXT) | instid1(VALU_DEP_3)
	v_mul_f32_e32 v30, 0x4f7ffffe, v30
	v_mul_lo_u32 v9, v9, v8
	s_delay_alu instid0(VALU_DEP_2) | instskip(NEXT) | instid1(VALU_DEP_1)
	v_cvt_u32_f32_e32 v30, v30
	v_mul_lo_u32 v29, v32, v30
	s_delay_alu instid0(VALU_DEP_3) | instskip(SKIP_1) | instid1(VALU_DEP_2)
	v_sub_nc_u32_e32 v9, v31, v9
	v_dual_sub_nc_u32 v32, 0, v25 :: v_dual_ashrrev_i32 v31, 31, v25
	v_cmp_ge_u32_e32 vcc_lo, v9, v8
	s_delay_alu instid0(VALU_DEP_4) | instskip(NEXT) | instid1(VALU_DEP_1)
	v_mul_hi_u32 v29, v30, v29
	v_dual_add_nc_u32 v29, v30, v29 :: v_dual_sub_nc_u32 v30, v9, v8
	s_delay_alu instid0(VALU_DEP_4) | instskip(NEXT) | instid1(VALU_DEP_2)
	v_max_i32_e32 v32, v25, v32
	v_cndmask_b32_e32 v9, v9, v30, vcc_lo
	s_delay_alu instid0(VALU_DEP_2) | instskip(NEXT) | instid1(VALU_DEP_2)
	v_mul_hi_u32 v29, v32, v29
	v_cmp_ge_u32_e32 vcc_lo, v9, v8
	s_delay_alu instid0(VALU_DEP_2) | instskip(SKIP_1) | instid1(VALU_DEP_1)
	v_mul_lo_u32 v29, v29, v28
	v_sub_nc_u32_e32 v30, v9, v8
	v_dual_cndmask_b32 v8, v9, v30 :: v_dual_sub_nc_u32 v9, v32, v29
	s_delay_alu instid0(VALU_DEP_1) | instskip(SKIP_1) | instid1(VALU_DEP_2)
	v_sub_nc_u32_e32 v29, v9, v28
	v_cmp_ge_u32_e32 vcc_lo, v9, v28
	v_dual_cndmask_b32 v29, v9, v29, vcc_lo :: v_dual_bitop2_b32 v8, v8, v0 bitop3:0x14
	s_delay_alu instid0(VALU_DEP_1) | instskip(SKIP_1) | instid1(VALU_DEP_2)
	v_sub_nc_u32_e32 v30, v29, v28
	v_cmp_ge_u32_e32 vcc_lo, v29, v28
	v_dual_sub_nc_u32 v0, v8, v0 :: v_dual_cndmask_b32 v28, v29, v30, vcc_lo
	s_wait_loadcnt 0x0
	s_delay_alu instid0(VALU_DEP_1) | instskip(NEXT) | instid1(VALU_DEP_1)
	v_mad_nc_u64_u32 v[8:9], v6, v0, v[4:5]
	v_mad_u32 v7, v7, v0, v9
	s_delay_alu instid0(VALU_DEP_3) | instskip(NEXT) | instid1(VALU_DEP_1)
	v_dual_ashrrev_i32 v0, 31, v0 :: v_dual_bitop2_b32 v9, v28, v31 bitop3:0x14
	v_sub_nc_u32_e32 v28, v9, v31
	s_delay_alu instid0(VALU_DEP_2) | instskip(NEXT) | instid1(VALU_DEP_2)
	v_mad_u32 v9, v6, v0, v7
	v_mul_lo_u32 v6, v28, v11
	v_dual_add_nc_u32 v7, -1, v27 :: v_dual_mov_b32 v11, v10
	v_mov_b32_e32 v0, 1
	ds_store_2addr_b64 v0, v[10:11], v[8:9] offset0:5 offset1:6
	ds_store_b64 v0, v[22:23]
	ds_store_b32 v0, v6 offset:8
	ds_store_2addr_b32 v0, v71, v10 offset0:3 offset1:4
	s_wait_xcnt 0x0
	v_cmpx_ne_u32_e64 v28, v7
; %bb.328:                              ;   in Loop: Header=BB7_294 Depth=2
	v_add_nc_u32_e32 v0, v3, v2
	s_delay_alu instid0(VALU_DEP_1)
	v_cmp_ge_i32_e32 vcc_lo, v0, v1
	v_cndmask_b32_e64 v0, 0, 1, vcc_lo
; %bb.329:                              ;   in Loop: Header=BB7_294 Depth=2
	s_or_b32 exec_lo, exec_lo, s8
	v_cmp_ge_i32_e32 vcc_lo, v3, v1
	ds_store_2addr_b32 v0, v0, v10 offset0:5 offset1:6
	s_and_b32 s8, vcc_lo, exec_lo
.LBB7_330:                              ;   in Loop: Header=BB7_294 Depth=2
	s_or_b32 exec_lo, exec_lo, s7
	s_delay_alu instid0(SALU_CYCLE_1) | instskip(SKIP_1) | instid1(SALU_CYCLE_1)
	s_and_not1_b32 s7, s21, exec_lo
	s_and_b32 s8, s8, exec_lo
	s_or_b32 s21, s7, s8
.LBB7_331:                              ;   in Loop: Header=BB7_294 Depth=2
	s_or_b32 exec_lo, exec_lo, s6
	s_delay_alu instid0(SALU_CYCLE_1)
	s_or_not1_b32 s7, s21, exec_lo
.LBB7_332:                              ;   in Loop: Header=BB7_294 Depth=2
	s_or_b32 exec_lo, exec_lo, s12
	scratch_load_b32 v0, off, s32 offset:52
	v_add_nc_u32_e32 v1, 1, v25
                                        ; implicit-def: $sgpr12
	s_mov_b32 s6, exec_lo
	s_wait_loadcnt 0x0
	v_max_i32_e32 v2, v26, v0
	scratch_store_b32 off, v1, s32 offset:64
	s_wait_xcnt 0x0
	v_cmpx_le_i32_e64 v2, v1
	s_xor_b32 s8, exec_lo, s6
	s_cbranch_execz .LBB7_389
; %bb.333:                              ;   in Loop: Header=BB7_294 Depth=2
	s_mov_b32 s6, exec_lo
                                        ; implicit-def: $vgpr2
	v_cmpx_lt_i32_e32 1, v24
	s_xor_b32 s6, exec_lo, s6
	s_cbranch_execz .LBB7_337
; %bb.334:                              ;   in Loop: Header=BB7_294 Depth=2
	v_mov_b32_e32 v2, 1
	s_mov_b32 s9, exec_lo
	v_cmpx_eq_u32_e32 2, v24
	s_cbranch_execz .LBB7_336
; %bb.335:                              ;   in Loop: Header=BB7_294 Depth=2
	scratch_load_b32 v0, off, s32 offset:72
	s_wait_loadcnt 0x0
	v_lshrrev_b32_e32 v1, 31, v0
	s_delay_alu instid0(VALU_DEP_1) | instskip(NEXT) | instid1(VALU_DEP_1)
	v_dual_add_nc_u32 v1, v0, v1 :: v_dual_add_nc_u32 v0, 1, v0
	v_ashrrev_i32_e32 v1, 1, v1
	s_delay_alu instid0(VALU_DEP_2)
	v_cmp_gt_u32_e32 vcc_lo, 3, v0
	scratch_store_b32 off, v1, s32 offset:72
	v_cndmask_b32_e64 v2, 2, 1, vcc_lo
.LBB7_336:                              ;   in Loop: Header=BB7_294 Depth=2
	s_wait_xcnt 0x0
	s_or_b32 exec_lo, exec_lo, s9
.LBB7_337:                              ;   in Loop: Header=BB7_294 Depth=2
	s_and_not1_saveexec_b32 s6, s6
	s_cbranch_execz .LBB7_341
; %bb.338:                              ;   in Loop: Header=BB7_294 Depth=2
	v_mov_b32_e32 v2, 1
	s_mov_b32 s9, exec_lo
	v_cmpx_eq_u32_e32 1, v24
	s_cbranch_execz .LBB7_340
; %bb.339:                              ;   in Loop: Header=BB7_294 Depth=2
	scratch_load_b32 v0, off, s32 offset:60
	s_wait_loadcnt 0x0
	v_and_b32_e32 v0, 0x80000001, v0
	s_delay_alu instid0(VALU_DEP_1)
	v_cmp_ne_u32_e32 vcc_lo, 1, v0
	v_cndmask_b32_e64 v2, 0, 1, vcc_lo
.LBB7_340:                              ;   in Loop: Header=BB7_294 Depth=2
	s_wait_xcnt 0x0
	s_or_b32 exec_lo, exec_lo, s9
.LBB7_341:                              ;   in Loop: Header=BB7_294 Depth=2
	s_delay_alu instid0(SALU_CYCLE_1)
	s_or_b32 exec_lo, exec_lo, s6
	v_cmp_ne_u32_e64 s9, 0, v24
	s_mov_b32 s6, -1
	v_cmp_eq_u32_e32 vcc_lo, 0, v24
	scratch_store_b32 off, v2, s32 offset:76
	s_wait_xcnt 0x0
	s_and_saveexec_b32 s12, s9
	s_cbranch_execnz .LBB7_346
; %bb.342:                              ;   in Loop: Header=BB7_294 Depth=2
	s_or_b32 exec_lo, exec_lo, s12
	s_and_saveexec_b32 s12, s6
	s_cbranch_execnz .LBB7_349
.LBB7_343:                              ;   in Loop: Header=BB7_294 Depth=2
	s_or_b32 exec_lo, exec_lo, s12
	s_mov_b32 s6, 0
	s_and_saveexec_b32 s12, vcc_lo
	s_cbranch_execnz .LBB7_360
.LBB7_344:                              ;   in Loop: Header=BB7_294 Depth=2
	s_or_b32 exec_lo, exec_lo, s12
	s_and_saveexec_b32 s12, s9
	s_delay_alu instid0(SALU_CYCLE_1)
	s_xor_b32 s9, exec_lo, s12
	s_cbranch_execnz .LBB7_361
.LBB7_345:                              ;   in Loop: Header=BB7_294 Depth=2
	s_or_b32 exec_lo, exec_lo, s9
	s_mov_b32 s12, 0
	s_and_saveexec_b32 s9, s6
	s_cbranch_execnz .LBB7_364
	s_branch .LBB7_388
.LBB7_346:                              ;   in Loop: Header=BB7_294 Depth=2
	s_mov_b32 s21, 0
	s_mov_b32 s20, exec_lo
	v_cmpx_eq_u32_e32 1, v24
	s_cbranch_execz .LBB7_348
; %bb.347:                              ;   in Loop: Header=BB7_294 Depth=2
	scratch_load_b32 v0, off, s32 offset:60
	s_wait_loadcnt 0x0
	v_and_b32_e32 v0, 1, v0
	s_delay_alu instid0(VALU_DEP_1)
	v_cmp_eq_u32_e64 s6, 0, v0
	s_and_b32 s21, s6, exec_lo
.LBB7_348:                              ;   in Loop: Header=BB7_294 Depth=2
	s_wait_xcnt 0x0
	s_or_b32 exec_lo, exec_lo, s20
	s_delay_alu instid0(SALU_CYCLE_1)
	s_or_not1_b32 s6, s21, exec_lo
	s_or_b32 exec_lo, exec_lo, s12
	s_and_saveexec_b32 s12, s6
	s_cbranch_execz .LBB7_343
.LBB7_349:                              ;   in Loop: Header=BB7_294 Depth=2
	scratch_load_b64 v[0:1], off, s32 offset:80
	s_mov_b32 s20, exec_lo
	s_wait_loadcnt 0x0
	v_cmpx_lt_i32_e32 0, v0
	s_cbranch_execz .LBB7_359
; %bb.350:                              ;   in Loop: Header=BB7_294 Depth=2
	s_mov_b32 s21, 0
	s_mov_b32 s22, s17
	;; [unrolled: 1-line block ×3, first 2 shown]
	s_branch .LBB7_354
.LBB7_351:                              ;   in Loop: Header=BB7_354 Depth=3
	s_wait_xcnt 0x0
	s_or_b32 exec_lo, exec_lo, s27
	v_add_nc_u32_e32 v1, 1, v6
	scratch_store_b32 off, v1, s22
.LBB7_352:                              ;   in Loop: Header=BB7_354 Depth=3
	s_wait_xcnt 0x0
	s_or_b32 exec_lo, exec_lo, s25
	v_mov_b32_e32 v1, v3
.LBB7_353:                              ;   in Loop: Header=BB7_354 Depth=3
	s_or_b32 exec_lo, exec_lo, s24
	s_add_co_i32 s23, s23, 1
	s_add_co_i32 s22, s22, 4
	v_cmp_eq_u32_e64 s6, s23, v0
	s_or_b32 s21, s6, s21
	s_delay_alu instid0(SALU_CYCLE_1)
	s_and_not1_b32 exec_lo, exec_lo, s21
	s_cbranch_execz .LBB7_358
.LBB7_354:                              ;   Parent Loop BB7_4 Depth=1
                                        ;     Parent Loop BB7_294 Depth=2
                                        ; =>    This Inner Loop Header: Depth=3
	scratch_load_b32 v3, off, s22 offset:-128
	s_mov_b32 s24, exec_lo
	s_wait_loadcnt 0x0
	v_add_nc_u32_e32 v3, -1, v3
	scratch_store_b32 off, v3, s22 offset:-128
	s_wait_xcnt 0x0
	v_cmpx_eq_u32_e32 0, v3
	s_cbranch_execz .LBB7_353
; %bb.355:                              ;   in Loop: Header=BB7_354 Depth=3
	s_lshl_b32 s26, 1, s23
	s_mov_b32 s25, exec_lo
	v_dual_mov_b32 v7, s26 :: v_dual_bitop2_b32 v6, s26, v1 bitop3:0x40
	v_xor_b32_e32 v3, s26, v1
	scratch_store_b32 off, v3, s32 offset:84
	scratch_store_b32 off, v7, s22 offset:-128
	s_wait_xcnt 0x0
	v_cmpx_ne_u32_e32 0, v6
	s_cbranch_execz .LBB7_352
; %bb.356:                              ;   in Loop: Header=BB7_354 Depth=3
	scratch_load_b32 v6, off, s22
	s_mov_b32 s27, exec_lo
	s_wait_loadcnt 0x0
	v_ctz_i32_b32_e32 v7, v6
	v_cmp_eq_u32_e64 s6, 0, v6
	s_delay_alu instid0(VALU_DEP_1) | instskip(NEXT) | instid1(VALU_DEP_1)
	v_cndmask_b32_e64 v7, v7, v0, s6
	v_add3_u32 v7, s26, -1, v7
	scratch_store_b32 off, v7, s22 offset:-128
	s_wait_xcnt 0x0
	v_cmpx_eq_u32_e32 0, v7
	s_cbranch_execz .LBB7_351
; %bb.357:                              ;   in Loop: Header=BB7_354 Depth=3
	v_dual_mov_b32 v7, s26 :: v_dual_mov_b32 v3, v1
	scratch_store_b32 off, v1, s32 offset:84
	scratch_store_b32 off, v7, s22 offset:-128
	s_branch .LBB7_351
.LBB7_358:                              ;   in Loop: Header=BB7_294 Depth=2
	s_or_b32 exec_lo, exec_lo, s21
.LBB7_359:                              ;   in Loop: Header=BB7_294 Depth=2
	s_delay_alu instid0(SALU_CYCLE_1)
	s_or_b32 exec_lo, exec_lo, s20
	scratch_store_b32 off, v1, s32 offset:60
	s_wait_xcnt 0x0
	s_or_b32 exec_lo, exec_lo, s12
	s_mov_b32 s6, 0
	s_and_saveexec_b32 s12, vcc_lo
	s_cbranch_execz .LBB7_344
.LBB7_360:                              ;   in Loop: Header=BB7_294 Depth=2
	s_clause 0x1
	scratch_load_b32 v0, off, s32 offset:68
	scratch_load_b32 v1, off, s32 offset:60
	s_and_not1_b32 s9, s9, exec_lo
	s_mov_b32 s6, exec_lo
	s_wait_loadcnt 0x1
	v_lshrrev_b32_e32 v3, 31, v0
	s_delay_alu instid0(VALU_DEP_1) | instskip(NEXT) | instid1(VALU_DEP_1)
	v_add_nc_u32_e32 v0, v0, v3
	v_ashrrev_i32_e32 v0, 1, v0
	s_wait_loadcnt 0x0
	s_delay_alu instid0(VALU_DEP_1) | instskip(SKIP_1) | instid1(SALU_CYCLE_1)
	v_cmp_ne_u32_e32 vcc_lo, v1, v0
	s_and_b32 s20, vcc_lo, exec_lo
	s_or_b32 s9, s9, s20
	s_wait_xcnt 0x0
	s_or_b32 exec_lo, exec_lo, s12
	s_and_saveexec_b32 s12, s9
	s_delay_alu instid0(SALU_CYCLE_1)
	s_xor_b32 s9, exec_lo, s12
	s_cbranch_execz .LBB7_345
.LBB7_361:                              ;   in Loop: Header=BB7_294 Depth=2
	scratch_load_b32 v0, off, s32 offset:56
	s_mov_b32 s12, exec_lo
	scratch_store_b32 off, v10, s32 offset:64
	s_wait_loadcnt 0x0
	scratch_store_b32 off, v0, s32 offset:48
	s_wait_xcnt 0x0
	v_cmpx_lt_u32_e32 1, v2
	s_cbranch_execz .LBB7_363
; %bb.362:                              ;   in Loop: Header=BB7_294 Depth=2
	scratch_load_b32 v1, off, s32 offset:72
	s_wait_loadcnt 0x0
	v_dual_sub_nc_u32 v7, 0, v0 :: v_dual_lshlrev_b32 v1, 1, v1
	s_delay_alu instid0(VALU_DEP_1) | instskip(NEXT) | instid1(VALU_DEP_1)
	v_sub_nc_u32_e32 v2, 0, v1
	v_max_i32_e32 v2, v1, v2
	s_delay_alu instid0(VALU_DEP_1) | instskip(SKIP_1) | instid1(VALU_DEP_2)
	v_cvt_f32_u32_e32 v3, v2
	v_sub_nc_u32_e32 v6, 0, v2
	v_rcp_iflag_f32_e32 v3, v3
	v_nop
	s_delay_alu instid0(TRANS32_DEP_1) | instskip(NEXT) | instid1(VALU_DEP_1)
	v_mul_f32_e32 v3, 0x4f7ffffe, v3
	v_cvt_u32_f32_e32 v3, v3
	s_delay_alu instid0(VALU_DEP_1) | instskip(NEXT) | instid1(VALU_DEP_1)
	v_mul_lo_u32 v6, v6, v3
	v_mul_hi_u32 v6, v3, v6
	s_delay_alu instid0(VALU_DEP_1) | instskip(NEXT) | instid1(VALU_DEP_1)
	v_dual_add_nc_u32 v3, v3, v6 :: v_dual_max_i32 v7, v0, v7
	v_mul_hi_u32 v3, v7, v3
	s_delay_alu instid0(VALU_DEP_1) | instskip(NEXT) | instid1(VALU_DEP_1)
	v_mul_lo_u32 v6, v3, v2
	v_dual_sub_nc_u32 v6, v7, v6 :: v_dual_add_nc_u32 v7, 1, v3
	s_delay_alu instid0(VALU_DEP_1) | instskip(NEXT) | instid1(VALU_DEP_2)
	v_cmp_ge_u32_e32 vcc_lo, v6, v2
	v_dual_cndmask_b32 v3, v3, v7 :: v_dual_sub_nc_u32 v8, v6, v2
	s_delay_alu instid0(VALU_DEP_1) | instskip(NEXT) | instid1(VALU_DEP_1)
	v_dual_cndmask_b32 v1, v6, v8, vcc_lo :: v_dual_bitop2_b32 v0, v0, v1 bitop3:0x14
	v_dual_add_nc_u32 v6, 1, v3 :: v_dual_ashrrev_i32 v0, 31, v0
	s_delay_alu instid0(VALU_DEP_2) | instskip(NEXT) | instid1(VALU_DEP_2)
	v_cmp_ge_u32_e32 vcc_lo, v1, v2
	v_cndmask_b32_e32 v1, v3, v6, vcc_lo
	s_delay_alu instid0(VALU_DEP_1) | instskip(NEXT) | instid1(VALU_DEP_1)
	v_xor_b32_e32 v1, v1, v0
	v_sub_nc_u32_e32 v0, v1, v0
	scratch_store_b32 off, v0, s32 offset:48
.LBB7_363:                              ;   in Loop: Header=BB7_294 Depth=2
	s_wait_xcnt 0x0
	s_or_b32 exec_lo, exec_lo, s12
	s_delay_alu instid0(SALU_CYCLE_1)
	s_and_not1_b32 s6, s6, exec_lo
	s_or_b32 exec_lo, exec_lo, s9
	s_mov_b32 s12, 0
	s_and_saveexec_b32 s9, s6
	s_cbranch_execz .LBB7_388
.LBB7_364:                              ;   in Loop: Header=BB7_294 Depth=2
	s_clause 0x1
	scratch_load_b32 v0, off, s32 offset:24
	scratch_load_b64 v[6:7], off, s32 offset:8
	s_mov_b32 s6, exec_lo
	s_wait_loadcnt 0x1
	v_ashrrev_i32_e32 v1, 31, v0
	s_delay_alu instid0(VALU_DEP_1)
	v_add_nc_u64_e32 v[4:5], v[4:5], v[0:1]
	scratch_store_b64 off, v[4:5], s32
	s_wait_loadcnt 0x0
	v_cmpx_le_u64_e64 v[6:7], v[4:5]
	s_xor_b32 s6, exec_lo, s6
; %bb.365:                              ;   in Loop: Header=BB7_294 Depth=2
	ds_store_b32 v0, v80 offset:32
                                        ; implicit-def: $vgpr6_vgpr7
                                        ; implicit-def: $vgpr4_vgpr5
                                        ; implicit-def: $vgpr0_vgpr1
; %bb.366:                              ;   in Loop: Header=BB7_294 Depth=2
	s_or_saveexec_b32 s12, s6
	s_mov_b32 s6, -1
	s_xor_b32 exec_lo, exec_lo, s12
	s_cbranch_execz .LBB7_387
; %bb.367:                              ;   in Loop: Header=BB7_294 Depth=2
	s_clause 0x1
	scratch_load_b32 v3, off, s32 offset:56
	scratch_load_b32 v2, off, s32 offset:80
	v_sub_nc_u64_e32 v[4:5], v[6:7], v[4:5]
	s_mov_b32 s20, exec_lo
	s_delay_alu instid0(VALU_DEP_1) | instskip(SKIP_2) | instid1(VALU_DEP_1)
	v_min_i64 v[6:7], v[0:1], v[4:5]
	s_wait_loadcnt 0x1
	v_dual_mov_b32 v4, 0 :: v_dual_lshrrev_b32 v0, 31, v3
	v_dual_add_nc_u32 v1, -2, v3 :: v_dual_add_nc_u32 v0, v3, v0
	s_delay_alu instid0(VALU_DEP_1) | instskip(NEXT) | instid1(VALU_DEP_2)
	v_cmp_gt_u32_e32 vcc_lo, -3, v1
	v_ashrrev_i32_e32 v0, 1, v0
	v_cndmask_b32_e64 v1, 1, 2, vcc_lo
	s_clause 0x2
	scratch_store_b32 off, v6, s32 offset:28
	scratch_store_b64 off, v[0:1], s32 offset:72
	scratch_store_b32 off, v4, s32 offset:84
	s_wait_loadcnt 0x0
	v_cmpx_lt_i32_e32 0, v2
	s_cbranch_execz .LBB7_384
; %bb.368:                              ;   in Loop: Header=BB7_294 Depth=2
	v_mov_b32_e32 v4, 0
	s_mov_b32 s22, -1
	s_mov_b32 s21, exec_lo
	v_cmpx_ne_u32_e32 1, v2
	s_cbranch_execz .LBB7_372
; %bb.369:                              ;   in Loop: Header=BB7_294 Depth=2
	v_and_b32_e32 v4, 0x7ffffffe, v2
	v_mov_b32_e32 v1, v2
	s_mov_b32 s22, 1
	s_mov_b32 s23, 0
	;; [unrolled: 1-line block ×3, first 2 shown]
	v_mov_b32_e32 v5, v4
	s_mov_b32 s25, 0
.LBB7_370:                              ;   Parent Loop BB7_4 Depth=1
                                        ;     Parent Loop BB7_294 Depth=2
                                        ; =>    This Inner Loop Header: Depth=3
	s_delay_alu instid0(VALU_DEP_1)
	v_add_nc_u32_e32 v5, -2, v5
	v_subrev_nc_u32_e32 v7, s22, v1
	v_subrev_nc_u32_e32 v6, s25, v2
	s_add_co_i32 s25, s25, 2
	s_add_co_i32 s22, s22, 2
	v_cmp_eq_u32_e64 s6, 0, v5
	s_clause 0x1
	scratch_store_b64 off, v[6:7], s24 offset:-128
	scratch_store_b64 off, v[20:21], s24
	s_wait_xcnt 0x0
	s_add_co_i32 s24, s24, 8
	s_or_b32 s23, s6, s23
	s_delay_alu instid0(SALU_CYCLE_1)
	s_and_not1_b32 exec_lo, exec_lo, s23
	s_cbranch_execnz .LBB7_370
; %bb.371:                              ;   in Loop: Header=BB7_294 Depth=2
	s_or_b32 exec_lo, exec_lo, s23
	v_cmp_ne_u32_e64 s6, v2, v4
	s_or_not1_b32 s22, s6, exec_lo
.LBB7_372:                              ;   in Loop: Header=BB7_294 Depth=2
	s_or_b32 exec_lo, exec_lo, s21
	s_and_saveexec_b32 s21, s22
	s_cbranch_execz .LBB7_375
; %bb.373:                              ;   in Loop: Header=BB7_294 Depth=2
	v_lshl_add_u32 v1, v4, 2, s17
	v_sub_nc_u32_e32 v4, v2, v4
	s_mov_b32 s22, 0
.LBB7_374:                              ;   Parent Loop BB7_4 Depth=1
                                        ;     Parent Loop BB7_294 Depth=2
                                        ; =>    This Inner Loop Header: Depth=3
	s_clause 0x1
	scratch_store_b32 v1, v4, off offset:-128
	scratch_store_b32 v1, v70, off
	s_wait_xcnt 0x0
	v_dual_add_nc_u32 v4, -1, v4 :: v_dual_add_nc_u32 v1, 4, v1
	s_delay_alu instid0(VALU_DEP_1) | instskip(SKIP_1) | instid1(SALU_CYCLE_1)
	v_cmp_eq_u32_e64 s6, 0, v4
	s_or_b32 s22, s6, s22
	s_and_not1_b32 exec_lo, exec_lo, s22
	s_cbranch_execnz .LBB7_374
.LBB7_375:                              ;   in Loop: Header=BB7_294 Depth=2
	s_or_b32 exec_lo, exec_lo, s21
	v_mov_b32_e32 v4, 0
	s_mov_b32 s21, 0
	s_mov_b32 s22, s17
	;; [unrolled: 1-line block ×3, first 2 shown]
	s_branch .LBB7_379
.LBB7_376:                              ;   in Loop: Header=BB7_379 Depth=3
	s_wait_xcnt 0x0
	s_or_b32 exec_lo, exec_lo, s27
	v_add_nc_u32_e32 v4, 1, v5
	scratch_store_b32 off, v4, s22
.LBB7_377:                              ;   in Loop: Header=BB7_379 Depth=3
	s_wait_xcnt 0x0
	s_or_b32 exec_lo, exec_lo, s25
	v_mov_b32_e32 v4, v1
.LBB7_378:                              ;   in Loop: Header=BB7_379 Depth=3
	s_or_b32 exec_lo, exec_lo, s24
	s_add_co_i32 s23, s23, 1
	s_add_co_i32 s22, s22, 4
	v_cmp_eq_u32_e64 s6, s23, v2
	s_or_b32 s21, s6, s21
	s_delay_alu instid0(SALU_CYCLE_1)
	s_and_not1_b32 exec_lo, exec_lo, s21
	s_cbranch_execz .LBB7_383
.LBB7_379:                              ;   Parent Loop BB7_4 Depth=1
                                        ;     Parent Loop BB7_294 Depth=2
                                        ; =>    This Inner Loop Header: Depth=3
	scratch_load_b32 v1, off, s22 offset:-128
	s_mov_b32 s24, exec_lo
	s_wait_loadcnt 0x0
	v_add_nc_u32_e32 v1, -1, v1
	scratch_store_b32 off, v1, s22 offset:-128
	s_wait_xcnt 0x0
	v_cmpx_eq_u32_e32 0, v1
	s_cbranch_execz .LBB7_378
; %bb.380:                              ;   in Loop: Header=BB7_379 Depth=3
	s_lshl_b32 s26, 1, s23
	s_mov_b32 s25, exec_lo
	v_dual_mov_b32 v6, s26 :: v_dual_bitop2_b32 v5, s26, v4 bitop3:0x40
	v_xor_b32_e32 v1, s26, v4
	scratch_store_b32 off, v1, s32 offset:84
	scratch_store_b32 off, v6, s22 offset:-128
	s_wait_xcnt 0x0
	v_cmpx_ne_u32_e32 0, v5
	s_cbranch_execz .LBB7_377
; %bb.381:                              ;   in Loop: Header=BB7_379 Depth=3
	scratch_load_b32 v5, off, s22
	s_mov_b32 s27, exec_lo
	s_wait_loadcnt 0x0
	v_ctz_i32_b32_e32 v6, v5
	v_cmp_eq_u32_e64 s6, 0, v5
	s_delay_alu instid0(VALU_DEP_1) | instskip(NEXT) | instid1(VALU_DEP_1)
	v_cndmask_b32_e64 v6, v6, v2, s6
	v_add3_u32 v6, s26, -1, v6
	scratch_store_b32 off, v6, s22 offset:-128
	s_wait_xcnt 0x0
	v_cmpx_eq_u32_e32 0, v6
	s_cbranch_execz .LBB7_376
; %bb.382:                              ;   in Loop: Header=BB7_379 Depth=3
	v_dual_mov_b32 v6, s26 :: v_dual_mov_b32 v1, v4
	scratch_store_b32 off, v4, s32 offset:84
	scratch_store_b32 off, v6, s22 offset:-128
	s_branch .LBB7_376
.LBB7_383:                              ;   in Loop: Header=BB7_294 Depth=2
	s_or_b32 exec_lo, exec_lo, s21
.LBB7_384:                              ;   in Loop: Header=BB7_294 Depth=2
	s_delay_alu instid0(SALU_CYCLE_1)
	s_or_b32 exec_lo, exec_lo, s20
	v_mov_b32_e32 v5, v10
	scratch_store_b64 off, v[4:5], s32 offset:60
	s_wait_xcnt 0x0
	s_and_saveexec_b32 s6, vcc_lo
	s_cbranch_execz .LBB7_386
; %bb.385:                              ;   in Loop: Header=BB7_294 Depth=2
	v_dual_ashrrev_i32 v1, 31, v0 :: v_dual_sub_nc_u32 v5, 0, v3
	s_delay_alu instid0(VALU_DEP_1) | instskip(NEXT) | instid1(VALU_DEP_2)
	v_lshl_add_u32 v0, v0, 1, v1
	v_dual_ashrrev_i32 v3, 31, v3 :: v_dual_max_i32 v5, v3, v5
	s_delay_alu instid0(VALU_DEP_2) | instskip(NEXT) | instid1(VALU_DEP_1)
	v_xor_b32_e32 v0, v0, v1
	v_cvt_f32_u32_e32 v2, v0
	v_sub_nc_u32_e32 v4, 0, v0
	s_delay_alu instid0(VALU_DEP_2) | instskip(SKIP_1) | instid1(TRANS32_DEP_1)
	v_rcp_iflag_f32_e32 v2, v2
	v_nop
	v_mul_f32_e32 v2, 0x4f7ffffe, v2
	v_xor_b32_e32 v1, v3, v1
	s_delay_alu instid0(VALU_DEP_2) | instskip(NEXT) | instid1(VALU_DEP_1)
	v_cvt_u32_f32_e32 v2, v2
	v_mul_lo_u32 v4, v4, v2
	s_delay_alu instid0(VALU_DEP_1) | instskip(NEXT) | instid1(VALU_DEP_1)
	v_mul_hi_u32 v4, v2, v4
	v_add_nc_u32_e32 v2, v2, v4
	s_delay_alu instid0(VALU_DEP_1) | instskip(NEXT) | instid1(VALU_DEP_1)
	v_mul_hi_u32 v2, v5, v2
	v_mul_lo_u32 v4, v2, v0
	s_delay_alu instid0(VALU_DEP_1) | instskip(NEXT) | instid1(VALU_DEP_1)
	v_dual_sub_nc_u32 v4, v5, v4 :: v_dual_add_nc_u32 v5, 1, v2
	v_sub_nc_u32_e32 v6, v4, v0
	v_cmp_ge_u32_e32 vcc_lo, v4, v0
	s_delay_alu instid0(VALU_DEP_2) | instskip(NEXT) | instid1(VALU_DEP_1)
	v_dual_cndmask_b32 v2, v2, v5, vcc_lo :: v_dual_cndmask_b32 v4, v4, v6, vcc_lo
	v_add_nc_u32_e32 v5, 1, v2
	s_delay_alu instid0(VALU_DEP_2) | instskip(NEXT) | instid1(VALU_DEP_2)
	v_cmp_ge_u32_e32 vcc_lo, v4, v0
	v_cndmask_b32_e32 v0, v2, v5, vcc_lo
	s_delay_alu instid0(VALU_DEP_1) | instskip(NEXT) | instid1(VALU_DEP_1)
	v_xor_b32_e32 v0, v0, v1
	v_sub_nc_u32_e32 v3, v0, v1
.LBB7_386:                              ;   in Loop: Header=BB7_294 Depth=2
	s_or_b32 exec_lo, exec_lo, s6
	s_delay_alu instid0(SALU_CYCLE_1)
	s_xor_b32 s6, exec_lo, -1
	scratch_store_b32 off, v3, s32 offset:48
.LBB7_387:                              ;   in Loop: Header=BB7_294 Depth=2
	s_wait_xcnt 0x0
	s_or_b32 exec_lo, exec_lo, s12
	s_delay_alu instid0(SALU_CYCLE_1)
	s_and_b32 s12, s6, exec_lo
.LBB7_388:                              ;   in Loop: Header=BB7_294 Depth=2
	s_or_b32 exec_lo, exec_lo, s9
                                        ; implicit-def: $vgpr24
                                        ; implicit-def: $vgpr4_vgpr5
                                        ; implicit-def: $vgpr26
                                        ; implicit-def: $vgpr0
                                        ; implicit-def: $vgpr25
.LBB7_389:                              ;   in Loop: Header=BB7_294 Depth=2
	s_and_not1_saveexec_b32 s8, s8
	s_cbranch_execz .LBB7_293
; %bb.390:                              ;   in Loop: Header=BB7_294 Depth=2
	scratch_load_b32 v1, off, s32 offset:60
	v_cmp_eq_u32_e32 vcc_lo, 0, v24
	s_wait_loadcnt 0x0
	v_cmp_eq_u32_e64 s6, 1, v1
	s_and_b32 s9, vcc_lo, s6
	s_wait_xcnt 0x0
	s_and_saveexec_b32 s6, s9
	s_cbranch_execz .LBB7_292
; %bb.391:                              ;   in Loop: Header=BB7_294 Depth=2
	s_clause 0x1
	scratch_load_b32 v2, off, s32 offset:24
	scratch_load_b64 v[6:7], off, s32 offset:8
	s_wait_loadcnt 0x1
	v_ashrrev_i32_e32 v3, 31, v2
	s_delay_alu instid0(VALU_DEP_1) | instskip(SKIP_1) | instid1(VALU_DEP_1)
	v_add_nc_u64_e32 v[2:3], v[4:5], v[2:3]
	s_wait_loadcnt 0x0
	v_cmp_ge_u64_e32 vcc_lo, v[2:3], v[6:7]
	s_wait_xcnt 0x0
	s_and_b32 exec_lo, exec_lo, vcc_lo
	s_cbranch_execz .LBB7_292
; %bb.392:                              ;   in Loop: Header=BB7_294 Depth=2
	v_dual_sub_nc_u32 v1, 0, v0 :: v_dual_add_nc_u32 v3, -1, v26
	s_delay_alu instid0(VALU_DEP_1) | instskip(NEXT) | instid1(VALU_DEP_1)
	v_dual_sub_nc_u32 v4, 1, v26 :: v_dual_max_i32 v0, v0, v1
	v_cvt_f32_u32_e32 v1, v0
	s_delay_alu instid0(VALU_DEP_1) | instskip(SKIP_1) | instid1(TRANS32_DEP_1)
	v_rcp_iflag_f32_e32 v1, v1
	v_nop
	v_dual_mul_f32 v1, 0x4f7ffffe, v1 :: v_dual_sub_nc_u32 v2, 0, v0
	s_delay_alu instid0(VALU_DEP_1) | instskip(NEXT) | instid1(VALU_DEP_1)
	v_cvt_u32_f32_e32 v1, v1
	v_mul_lo_u32 v2, v2, v1
	s_delay_alu instid0(VALU_DEP_1) | instskip(NEXT) | instid1(VALU_DEP_1)
	v_mul_hi_u32 v2, v1, v2
	v_dual_add_nc_u32 v1, v1, v2 :: v_dual_max_i32 v4, v3, v4
	s_delay_alu instid0(VALU_DEP_1) | instskip(NEXT) | instid1(VALU_DEP_1)
	v_mul_hi_u32 v1, v4, v1
	v_mul_lo_u32 v1, v1, v0
	s_delay_alu instid0(VALU_DEP_1) | instskip(NEXT) | instid1(VALU_DEP_1)
	v_dual_sub_nc_u32 v1, v4, v1 :: v_dual_ashrrev_i32 v4, 31, v3
	v_sub_nc_u32_e32 v2, v1, v0
	v_cmp_ge_u32_e32 vcc_lo, v1, v0
	s_delay_alu instid0(VALU_DEP_2) | instskip(NEXT) | instid1(VALU_DEP_1)
	v_cndmask_b32_e32 v1, v1, v2, vcc_lo
	v_sub_nc_u32_e32 v2, v1, v0
	v_cmp_ge_u32_e32 vcc_lo, v1, v0
	s_delay_alu instid0(VALU_DEP_2) | instskip(NEXT) | instid1(VALU_DEP_1)
	v_cndmask_b32_e32 v0, v1, v2, vcc_lo
	v_xor_b32_e32 v0, v0, v4
	s_delay_alu instid0(VALU_DEP_1) | instskip(NEXT) | instid1(VALU_DEP_1)
	v_sub_nc_u32_e32 v0, v4, v0
	v_add_nc_u32_e32 v0, v3, v0
	s_delay_alu instid0(VALU_DEP_1)
	v_cmp_ge_i32_e32 vcc_lo, v25, v0
	s_and_b32 exec_lo, exec_lo, vcc_lo
	s_cbranch_execz .LBB7_292
; %bb.393:                              ;   in Loop: Header=BB7_294 Depth=2
	ds_store_b32 v0, v70 offset:32
	s_branch .LBB7_292
.LBB7_394:
	s_wait_loadcnt 0x0
	s_wait_kmcnt 0x0
	s_set_pc_i64 s[30:31]
.Lfunc_end7:
	.size	_Z45ncclDevFunc_AllGather_PAT_SIMPLE_Sum_i8_0_0_1v, .Lfunc_end7-_Z45ncclDevFunc_AllGather_PAT_SIMPLE_Sum_i8_0_0_1v
                                        ; -- End function
	.set .L_Z45ncclDevFunc_AllGather_PAT_SIMPLE_Sum_i8_0_0_1v.num_vgpr, 116
	.set .L_Z45ncclDevFunc_AllGather_PAT_SIMPLE_Sum_i8_0_0_1v.num_agpr, 0
	.set .L_Z45ncclDevFunc_AllGather_PAT_SIMPLE_Sum_i8_0_0_1v.numbered_sgpr, 48
	.set .L_Z45ncclDevFunc_AllGather_PAT_SIMPLE_Sum_i8_0_0_1v.num_named_barrier, 0
	.set .L_Z45ncclDevFunc_AllGather_PAT_SIMPLE_Sum_i8_0_0_1v.private_seg_size, 352
	.set .L_Z45ncclDevFunc_AllGather_PAT_SIMPLE_Sum_i8_0_0_1v.uses_vcc, 1
	.set .L_Z45ncclDevFunc_AllGather_PAT_SIMPLE_Sum_i8_0_0_1v.uses_flat_scratch, 1
	.set .L_Z45ncclDevFunc_AllGather_PAT_SIMPLE_Sum_i8_0_0_1v.has_dyn_sized_stack, 0
	.set .L_Z45ncclDevFunc_AllGather_PAT_SIMPLE_Sum_i8_0_0_1v.has_recursion, 0
	.set .L_Z45ncclDevFunc_AllGather_PAT_SIMPLE_Sum_i8_0_0_1v.has_indirect_call, 0
	.section	.AMDGPU.csdata,"",@progbits
; Function info:
; codeLenInByte = 16960
; TotalNumSgprs: 50
; NumVgprs: 116
; ScratchSize: 352
; MemoryBound: 0
	.text
	.p2align	2                               ; -- Begin function _ZN12_GLOBAL__N_17runRingIa7FuncSumIaE7ProtoLLLi0ELi2ELi0ELb0EEEviiP15ncclDevWorkColl
	.type	_ZN12_GLOBAL__N_17runRingIa7FuncSumIaE7ProtoLLLi0ELi2ELi0ELb0EEEviiP15ncclDevWorkColl,@function
_ZN12_GLOBAL__N_17runRingIa7FuncSumIaE7ProtoLLLi0ELi2ELi0ELb0EEEviiP15ncclDevWorkColl: ; @_ZN12_GLOBAL__N_17runRingIa7FuncSumIaE7ProtoLLLi0ELi2ELi0ELb0EEEviiP15ncclDevWorkColl
; %bb.0:
	s_wait_loadcnt_dscnt 0x0
	s_wait_kmcnt 0x0
	s_clause 0xf
	scratch_store_b32 off, v40, s32 offset:60
	; meta instruction
	scratch_store_b32 off, v41, s32 offset:56
	; meta instruction
	;; [unrolled: 2-line block ×15, first 2 shown]
	scratch_store_b32 off, v63, s32
	s_trap 2
	s_clause 0x2
	flat_load_b32 v14, v[2:3]
	flat_load_b128 v[4:7], v[2:3] offset:72
	flat_load_b64 v[12:13], v[2:3] offset:88
	v_mov_b32_e32 v18, v1
	ds_load_b32 v8, v0
	ds_load_b64 v[22:23], v0
	s_mov_b32 s0, exec_lo
                                        ; implicit-def: $vgpr20_vgpr21
	s_wait_dscnt 0x1
	v_readfirstlane_b32 s10, v8
	s_wait_loadcnt 0x2
	v_bfe_u32 v9, v14, 8, 8
	v_bitop3_b32 v1, v14, 0xff, v14 bitop3:0x3f
	s_delay_alu instid0(VALU_DEP_1) | instskip(NEXT) | instid1(VALU_DEP_1)
	v_add_nc_u32_e32 v10, v9, v1
	v_ashrrev_i32_e32 v11, 31, v10
	s_wait_loadcnt 0x1
	s_delay_alu instid0(VALU_DEP_1) | instskip(SKIP_2) | instid1(VALU_DEP_1)
	v_mul_u64_e32 v[16:17], v[6:7], v[10:11]
	v_and_b32_e32 v10, 0xff, v14
                                        ; implicit-def: $vgpr14_vgpr15
	s_wait_xcnt 0x0
	v_cmpx_ne_u32_e64 v8, v10
	s_xor_b32 s0, exec_lo, s0
	s_cbranch_execz .LBB8_6
; %bb.1:
	s_mov_b32 s1, exec_lo
                                        ; implicit-def: $vgpr14_vgpr15
                                        ; implicit-def: $vgpr20_vgpr21
	v_cmpx_ne_u32_e64 v8, v9
	s_xor_b32 s1, exec_lo, s1
	s_cbranch_execz .LBB8_3
; %bb.2:
	flat_load_b64 v[10:11], v[2:3] offset:96
	v_add_nc_u32_e32 v1, v8, v1
	s_delay_alu instid0(VALU_DEP_1) | instskip(NEXT) | instid1(VALU_DEP_1)
	v_mad_nc_u64_u32 v[20:21], v6, v1, v[4:5]
	v_mad_u32 v8, v7, v1, v21
	v_ashrrev_i32_e32 v1, 31, v1
	s_delay_alu instid0(VALU_DEP_1)
	v_mad_u32 v21, v6, v1, v8
	s_wait_loadcnt_dscnt 0x0
	v_lshrrev_b64 v[14:15], 21, v[10:11]
.LBB8_3:
	s_wait_xcnt 0x0
	s_and_not1_saveexec_b32 s1, s1
	s_cbranch_execz .LBB8_5
; %bb.4:
	flat_load_b32 v1, v[2:3] offset:100
	v_add_nc_u64_e32 v[20:21], v[16:17], v[4:5]
	s_wait_loadcnt 0x1
	v_mov_b64_e32 v[6:7], v[12:13]
	s_wait_loadcnt_dscnt 0x0
	v_lshrrev_b32_e32 v14, 10, v1
.LBB8_5:
	s_wait_xcnt 0x0
	s_or_b32 exec_lo, exec_lo, s1
.LBB8_6:
	s_and_not1_saveexec_b32 s0, s0
	s_cbranch_execz .LBB8_8
; %bb.7:
	flat_load_b64 v[14:15], v[2:3] offset:96
	v_mov_b64_e32 v[20:21], 0
	v_mov_b64_e32 v[6:7], v[4:5]
.LBB8_8:
	s_wait_xcnt 0x0
	s_or_b32 exec_lo, exec_lo, s0
	flat_load_b128 v[8:11], v[2:3] offset:16
	s_wait_loadcnt 0x1
	v_add_nc_u64_e32 v[4:5], v[12:13], v[4:5]
	s_mov_b32 s0, exec_lo
	s_delay_alu instid0(VALU_DEP_1)
	v_add_nc_u64_e32 v[24:25], v[4:5], v[16:17]
	s_wait_xcnt 0x0
	v_cmpx_ge_i32_e64 v0, v18
	s_xor_b32 s0, exec_lo, s0
	s_cbranch_execz .LBB8_33
; %bb.9:
	s_wait_dscnt 0x1
	flat_load_b32 v2, v[22:23]
	s_mov_b32 s1, exec_lo
	s_wait_loadcnt_dscnt 0x0
	v_ashrrev_i32_e32 v3, 31, v2
	s_delay_alu instid0(VALU_DEP_1) | instskip(NEXT) | instid1(VALU_DEP_1)
	v_mul_u64_e32 v[2:3], v[24:25], v[2:3]
	v_add_nc_u64_e32 v[4:5], v[8:9], v[2:3]
	s_wait_xcnt 0x0
	s_delay_alu instid0(VALU_DEP_1)
	v_cmpx_ne_u64_e64 v[10:11], v[4:5]
	s_cbranch_execz .LBB8_32
; %bb.10:
	v_sub_nc_u32_e32 v17, v0, v18
	v_add_nc_u64_e32 v[8:9], v[8:9], v[20:21]
	s_mov_b32 s2, 0
	s_mov_b32 s3, 0
	s_mov_b32 s4, exec_lo
	v_ashrrev_i16 v0, 15, v17
	s_delay_alu instid0(VALU_DEP_2) | instskip(NEXT) | instid1(VALU_DEP_2)
	v_add_nc_u64_e32 v[2:3], v[8:9], v[2:3]
	v_lshrrev_b16 v0, 11, v0
	s_delay_alu instid0(VALU_DEP_1) | instskip(NEXT) | instid1(VALU_DEP_1)
	v_add_nc_u16 v5, v17, v0
	v_and_b32_e32 v0, 0xffffffe0, v5
	s_delay_alu instid0(VALU_DEP_1) | instskip(SKIP_1) | instid1(VALU_DEP_2)
	v_sub_nc_u16 v4, v17, v0
	v_add_nc_u64_e32 v[0:1], v[10:11], v[20:21]
	v_cmpx_gt_i16_e32 1, v4
; %bb.11:
	s_delay_alu instid0(VALU_DEP_2) | instskip(NEXT) | instid1(VALU_DEP_1)
	v_bitop3_b32 v8, v0, 15, v2 bitop3:0xc8
	v_cmp_ne_u32_e32 vcc_lo, 0, v8
	s_and_b32 s3, vcc_lo, exec_lo
; %bb.12:
	s_or_b32 exec_lo, exec_lo, s4
	v_cndmask_b32_e64 v8, 0, 1, s3
	v_ashrrev_i16 v20, 5, v5
	s_delay_alu instid0(VALU_DEP_2)
	v_cmp_ne_u32_e32 vcc_lo, 0, v8
	s_cbranch_vccz .LBB8_14
; %bb.13:
	v_mov_b64_e32 v[8:9], 0
	s_mov_b32 s5, -1
	s_mov_b32 s3, 0
                                        ; implicit-def: $vgpr10_vgpr11
                                        ; implicit-def: $vgpr4_vgpr5
                                        ; implicit-def: $vgpr15
	s_and_saveexec_b32 s4, s5
	s_cbranch_execnz .LBB8_23
	s_branch .LBB8_26
.LBB8_14:
	v_dual_ashrrev_i32 v5, 31, v7 :: v_dual_mov_b32 v9, 0
	s_delay_alu instid0(VALU_DEP_3) | instskip(SKIP_2) | instid1(VALU_DEP_2)
	v_bfe_i32 v10, v20, 0, 16
	s_mov_b32 s5, 0
	s_mov_b32 s3, -1
	v_lshrrev_b32_e32 v8, 21, v5
                                        ; implicit-def: $vgpr17
	s_delay_alu instid0(VALU_DEP_2) | instskip(NEXT) | instid1(VALU_DEP_2)
	v_ashrrev_i32_e32 v11, 31, v10
	v_add_nc_u64_e32 v[8:9], v[6:7], v[8:9]
	s_delay_alu instid0(VALU_DEP_1) | instskip(SKIP_1) | instid1(VALU_DEP_2)
	v_ashrrev_i64 v[12:13], 11, v[8:9]
	v_mov_b64_e32 v[8:9], 0
	v_sub_nc_u64_e32 v[14:15], v[12:13], v[10:11]
                                        ; implicit-def: $vgpr10_vgpr11
	s_delay_alu instid0(VALU_DEP_1)
	v_cmp_gt_i64_e32 vcc_lo, 1, v[14:15]
	v_bfe_i32 v15, v4, 0, 16
                                        ; implicit-def: $vgpr4_vgpr5
	s_and_saveexec_b32 s4, vcc_lo
	s_cbranch_execz .LBB8_22
; %bb.15:
	v_lshlrev_b64_e32 v[4:5], 11, v[12:13]
	v_mov_b64_e32 v[8:9], 0
	s_mov_b32 s6, 0
	s_mov_b32 s2, exec_lo
                                        ; implicit-def: $vgpr10_vgpr11
                                        ; implicit-def: $vgpr12_vgpr13
                                        ; implicit-def: $vgpr17
	s_delay_alu instid0(VALU_DEP_2)
	v_cmpx_ne_u64_e64 v[6:7], v[4:5]
	s_cbranch_execz .LBB8_21
; %bb.16:
	v_sub_nc_u64_e32 v[18:19], v[6:7], v[4:5]
	s_mov_b32 s3, exec_lo
	s_delay_alu instid0(VALU_DEP_1) | instskip(NEXT) | instid1(VALU_DEP_1)
	v_dual_mov_b32 v11, 0 :: v_dual_ashrrev_i32 v7, 31, v19
	v_lshrrev_b32_e32 v10, 23, v7
	s_delay_alu instid0(VALU_DEP_1) | instskip(NEXT) | instid1(VALU_DEP_1)
	v_add_nc_u64_e32 v[8:9], v[18:19], v[10:11]
	v_ashrrev_i64 v[16:17], 9, v[8:9]
	v_and_b32_e32 v8, 0xfffffe00, v8
	s_delay_alu instid0(VALU_DEP_1) | instskip(SKIP_1) | instid1(VALU_DEP_2)
	v_sub_nc_u64_e32 v[12:13], v[18:19], v[8:9]
	v_add_nc_u64_e32 v[8:9], v[8:9], v[4:5]
	v_cmpx_lt_i64_e32 15, v[12:13]
; %bb.17:
	v_and_b32_e32 v10, 15, v6
	v_add_nc_u64_e32 v[16:17], 1, v[16:17]
	s_delay_alu instid0(VALU_DEP_2) | instskip(SKIP_1) | instid1(VALU_DEP_2)
	v_sub_nc_u64_e32 v[6:7], v[12:13], v[10:11]
	v_mov_b64_e32 v[12:13], v[10:11]
	v_add_nc_u64_e32 v[8:9], v[6:7], v[8:9]
; %bb.18:
	s_or_b32 exec_lo, exec_lo, s3
	v_lshlrev_b32_e32 v6, 5, v14
	s_mov_b32 s3, 0
	s_mov_b32 s5, -1
	s_mov_b32 s6, exec_lo
                                        ; implicit-def: $vgpr17
	s_delay_alu instid0(VALU_DEP_1) | instskip(NEXT) | instid1(VALU_DEP_1)
	v_sub_nc_u32_e32 v6, v15, v6
	v_ashrrev_i32_e32 v7, 31, v6
	s_delay_alu instid0(VALU_DEP_1) | instskip(NEXT) | instid1(VALU_DEP_1)
	v_lshrrev_b32_e32 v7, 27, v7
	v_add_nc_u32_e32 v7, v6, v7
	s_delay_alu instid0(VALU_DEP_1) | instskip(NEXT) | instid1(VALU_DEP_1)
	v_and_b32_e32 v10, 0xffffffe0, v7
	v_dual_ashrrev_i32 v7, 5, v7 :: v_dual_sub_nc_u32 v6, v6, v10
	s_delay_alu instid0(VALU_DEP_1) | instskip(NEXT) | instid1(VALU_DEP_1)
	v_lshlrev_b32_e32 v10, 4, v6
	v_lshl_add_u32 v10, v7, 9, v10
	s_delay_alu instid0(VALU_DEP_1) | instskip(NEXT) | instid1(VALU_DEP_1)
	v_ashrrev_i32_e32 v11, 31, v10
	v_sub_nc_u64_e32 v[18:19], v[18:19], v[10:11]
	s_delay_alu instid0(VALU_DEP_1)
	v_cmpx_gt_i64_e32 16, v[18:19]
; %bb.19:
	v_sub_nc_u32_e32 v7, v7, v16
	v_cmp_ne_u64_e32 vcc_lo, 0, v[12:13]
	s_xor_b32 s5, exec_lo, -1
	s_delay_alu instid0(VALU_DEP_2)
	v_lshl_add_u32 v17, v7, 5, v6
	s_and_b32 s3, vcc_lo, exec_lo
; %bb.20:
	s_or_b32 exec_lo, exec_lo, s6
	s_delay_alu instid0(SALU_CYCLE_1)
	s_and_b32 s6, s5, exec_lo
	s_and_b32 s5, s3, exec_lo
.LBB8_21:
	s_or_b32 exec_lo, exec_lo, s2
	v_mov_b64_e32 v[6:7], v[12:13]
	s_xor_b32 s3, exec_lo, -1
	s_and_b32 s2, s6, exec_lo
	s_and_b32 s5, s5, exec_lo
.LBB8_22:
	s_or_b32 exec_lo, exec_lo, s4
	s_and_saveexec_b32 s4, s5
	s_cbranch_execz .LBB8_26
.LBB8_23:
	v_dual_ashrrev_i32 v12, 31, v17 :: v_dual_ashrrev_i32 v13, 31, v7
	s_delay_alu instid0(VALU_DEP_1) | instskip(NEXT) | instid1(VALU_DEP_1)
	v_dual_lshrrev_b32 v14, 27, v12 :: v_dual_lshrrev_b32 v12, 23, v13
	v_dual_mov_b32 v13, 0 :: v_dual_add_nc_u32 v14, v17, v14
	s_delay_alu instid0(VALU_DEP_1) | instskip(NEXT) | instid1(VALU_DEP_2)
	v_add_nc_u64_e32 v[12:13], v[6:7], v[12:13]
	v_ashrrev_i32_e32 v6, 5, v14
	s_delay_alu instid0(VALU_DEP_2) | instskip(NEXT) | instid1(VALU_DEP_2)
	v_ashrrev_i64 v[12:13], 9, v[12:13]
	v_ashrrev_i32_e32 v7, 31, v6
	s_delay_alu instid0(VALU_DEP_1)
	v_cmp_gt_i64_e32 vcc_lo, v[12:13], v[6:7]
	s_and_b32 exec_lo, exec_lo, vcc_lo
	s_cbranch_execz .LBB8_26
; %bb.24:
	v_lshlrev_b32_e32 v7, 5, v6
	s_mov_b32 vcc_lo, exec_lo
	s_delay_alu instid0(VALU_DEP_1) | instskip(NEXT) | instid1(VALU_DEP_1)
	v_sub_nc_u32_e32 v7, v17, v7
	v_lshl_add_u32 v6, v6, 9, v7
	s_delay_alu instid0(VALU_DEP_1) | instskip(NEXT) | instid1(VALU_DEP_1)
	v_ashrrev_i32_e32 v7, 31, v6
	v_add_nc_u64_e32 v[8:9], v[8:9], v[6:7]
	s_delay_alu instid0(VALU_DEP_1)
	v_add_nc_u64_e32 v[6:7], v[8:9], v[2:3]
	v_add_nc_u64_e32 v[8:9], v[8:9], v[0:1]
.LBB8_25:                               ; =>This Inner Loop Header: Depth=1
	s_clause 0xf
	flat_load_u8 v12, v[8:9] th:TH_LOAD_NT
	flat_load_u8 v13, v[8:9] offset:32 th:TH_LOAD_NT
	flat_load_u8 v14, v[8:9] offset:64 th:TH_LOAD_NT
	flat_load_u8 v16, v[8:9] offset:96 th:TH_LOAD_NT
	flat_load_u8 v17, v[8:9] offset:128 th:TH_LOAD_NT
	flat_load_u8 v18, v[8:9] offset:160 th:TH_LOAD_NT
	flat_load_u8 v19, v[8:9] offset:192 th:TH_LOAD_NT
	flat_load_u8 v21, v[8:9] offset:224 th:TH_LOAD_NT
	flat_load_u8 v22, v[8:9] offset:256 th:TH_LOAD_NT
	flat_load_u8 v23, v[8:9] offset:288 th:TH_LOAD_NT
	flat_load_u8 v24, v[8:9] offset:320 th:TH_LOAD_NT
	flat_load_u8 v25, v[8:9] offset:352 th:TH_LOAD_NT
	flat_load_u8 v26, v[8:9] offset:384 th:TH_LOAD_NT
	flat_load_u8 v27, v[8:9] offset:416 th:TH_LOAD_NT
	flat_load_u8 v28, v[8:9] offset:448 th:TH_LOAD_NT
	flat_load_u8 v29, v[8:9] offset:480 th:TH_LOAD_NT
	s_wait_loadcnt_dscnt 0xf0f
	flat_store_b8 v[6:7], v12 th:TH_STORE_NT
	s_wait_loadcnt_dscnt 0xe0f
	flat_store_b8 v[6:7], v13 offset:32 th:TH_STORE_NT
	s_wait_loadcnt_dscnt 0xd0f
	flat_store_b8 v[6:7], v14 offset:64 th:TH_STORE_NT
	;; [unrolled: 2-line block ×15, first 2 shown]
	s_cbranch_vccnz .LBB8_25
.LBB8_26:
	s_wait_xcnt 0x0
	s_or_b32 exec_lo, exec_lo, s4
	s_and_saveexec_b32 s4, s2
	s_cbranch_execz .LBB8_29
; %bb.27:
	v_add_nc_u64_e32 v[6:7], v[4:5], v[10:11]
	s_mov_b32 vcc_lo, 0
	s_delay_alu instid0(VALU_DEP_1)
	v_add_nc_u64_e32 v[4:5], v[6:7], v[2:3]
	v_add_nc_u64_e32 v[6:7], v[6:7], v[0:1]
.LBB8_28:                               ; =>This Inner Loop Header: Depth=1
	global_load_b128 v[8:11], v[6:7], off th:TH_LOAD_NT
	s_wait_loadcnt 0x0
	global_store_b128 v[4:5], v[8:11], off th:TH_STORE_NT
	s_cbranch_vccz .LBB8_28
.LBB8_29:
	s_wait_xcnt 0x0
	s_or_b32 exec_lo, exec_lo, s4
	s_and_saveexec_b32 s2, s3
	s_delay_alu instid0(SALU_CYCLE_1)
	s_xor_b32 s2, exec_lo, s2
	s_cbranch_execz .LBB8_32
; %bb.30:
	v_bfe_i32 v4, v20, 0, 16
	v_lshlrev_b32_e32 v5, 4, v15
	s_mov_b32 vcc_lo, 0
	s_delay_alu instid0(VALU_DEP_1) | instskip(NEXT) | instid1(VALU_DEP_1)
	v_lshl_add_u32 v4, v4, 11, v5
	v_ashrrev_i32_e32 v5, 31, v4
	s_delay_alu instid0(VALU_DEP_1)
	v_add_nc_u64_e32 v[2:3], v[2:3], v[4:5]
	v_add_nc_u64_e32 v[0:1], v[0:1], v[4:5]
.LBB8_31:                               ; =>This Inner Loop Header: Depth=1
	s_clause 0x3
	global_load_b128 v[4:7], v[0:1], off th:TH_LOAD_NT
	global_load_b128 v[8:11], v[0:1], off offset:512 th:TH_LOAD_NT
	global_load_b128 v[12:15], v[0:1], off offset:1024 th:TH_LOAD_NT
	;; [unrolled: 1-line block ×3, first 2 shown]
	s_wait_loadcnt 0x3
	global_store_b128 v[2:3], v[4:7], off th:TH_STORE_NT
	s_wait_loadcnt 0x2
	global_store_b128 v[2:3], v[8:11], off offset:512 th:TH_STORE_NT
	s_wait_loadcnt 0x1
	global_store_b128 v[2:3], v[12:15], off offset:1024 th:TH_STORE_NT
	;; [unrolled: 2-line block ×3, first 2 shown]
	s_cbranch_vccz .LBB8_31
.LBB8_32:
	s_wait_xcnt 0x0
	s_or_b32 exec_lo, exec_lo, s1
                                        ; implicit-def: $vgpr6_vgpr7
                                        ; implicit-def: $vgpr20_vgpr21
                                        ; implicit-def: $vgpr14_vgpr15
                                        ; implicit-def: $vgpr24_vgpr25
                                        ; implicit-def: $vgpr0
                                        ; implicit-def: $vgpr18
                                        ; implicit-def: $vgpr22_vgpr23
                                        ; implicit-def: $vgpr31
                                        ; implicit-def: $vgpr10_vgpr11
                                        ; implicit-def: $vgpr2_vgpr3
.LBB8_33:
	s_and_not1_saveexec_b32 s11, s0
	s_cbranch_execz .LBB8_341
; %bb.34:
	s_load_b32 s0, s[8:9], 0x0
	s_clause 0x1
	flat_load_u16 v13, v[2:3] offset:8
	flat_load_b32 v12, v[2:3] offset:4
	s_bfe_u32 s1, ttmp6, 0x4000c
	s_and_b32 s2, ttmp6, 15
	s_add_co_i32 s1, s1, 1
	s_getreg_b32 s3, hwreg(HW_REG_IB_STS2, 6, 4)
	s_mul_i32 s1, ttmp9, s1
	v_mov_b32_e32 v1, 0
	s_add_co_i32 s2, s2, s1
	s_cmp_eq_u32 s3, 0
	s_mov_b32 s1, 0
	s_cselect_b32 s2, ttmp9, s2
	v_mov_b64_e32 v[26:27], 0
	s_wait_kmcnt 0x0
	s_cmp_lt_u32 s2, s0
	s_cselect_b32 s0, 12, 18
	s_delay_alu instid0(SALU_CYCLE_1)
	s_add_nc_u64 s[2:3], s[8:9], s[0:1]
	s_wait_dscnt 0x3
	global_load_u16 v15, v1, s[2:3]
	s_wait_xcnt 0x0
	v_ashrrev_i32_e32 v1, 31, v0
	s_trap 2
	ds_load_b32 v4, v0
	s_wait_dscnt 0x0
	v_cmp_gt_i32_e32 vcc_lo, 0, v4
	v_readfirstlane_b32 s2, v4
	s_and_b32 vcc_lo, exec_lo, vcc_lo
	s_wait_loadcnt 0x1
	v_lshrrev_b64 v[12:13], 31, v[12:13]
	s_delay_alu instid0(VALU_DEP_1) | instskip(NEXT) | instid1(VALU_DEP_1)
	v_dual_lshrrev_b32 v2, 27, v1 :: v_dual_bitop2_b32 v3, 3, v12 bitop3:0x40
	v_add_nc_u32_e32 v2, v0, v2
	s_delay_alu instid0(VALU_DEP_2) | instskip(NEXT) | instid1(VALU_DEP_2)
	v_and_b32_e32 v3, 0xffff, v3
	v_and_b32_e32 v2, 0xffffffe0, v2
	s_delay_alu instid0(VALU_DEP_1) | instskip(NEXT) | instid1(VALU_DEP_1)
	v_sub_nc_u32_e32 v2, v0, v2
	v_cmp_eq_u32_e64 s0, 0, v2
	s_cbranch_vccnz .LBB8_36
; %bb.35:
	s_trap 2
	ds_load_b64 v[12:13], v0
	s_mov_b32 s1, 1
	s_wait_dscnt 0x0
	v_readfirstlane_b32 s4, v12
	v_readfirstlane_b32 s5, v13
	flat_load_b64 v[4:5], v4, s[4:5] scale_offset
	s_wait_loadcnt_dscnt 0x0
	v_mad_nc_u64_u32 v[4:5], 0xa8, v3, v[4:5]
	s_clause 0x1
	flat_load_b64 v[32:33], v[4:5] offset:504
	flat_load_b64 v[34:35], v[4:5] offset:608
	v_add_nc_u64_e32 v[28:29], 0x1f8, v[4:5]
	s_wait_xcnt 0x0
	s_delay_alu instid0(VALU_DEP_1)
	v_dual_cndmask_b32 v5, 0, v29, s0 :: v_dual_cndmask_b32 v4, 0, v28, s0
	s_branch .LBB8_37
.LBB8_36:
	v_mov_b64_e32 v[28:29], 0
	v_mov_b64_e32 v[4:5], 0
                                        ; implicit-def: $vgpr34_vgpr35
                                        ; implicit-def: $vgpr32_vgpr33
.LBB8_37:
	s_trap 2
	ds_load_b32 v12, v0
	s_wait_dscnt 0x0
	v_cmp_gt_i32_e32 vcc_lo, 0, v12
	s_cbranch_vccnz .LBB8_39
; %bb.38:
	s_trap 2
	ds_load_b64 v[16:17], v0
	v_cmp_eq_u32_e32 vcc_lo, 0, v2
	s_wait_dscnt 0x0
	v_readfirstlane_b32 s4, v16
	v_readfirstlane_b32 s5, v17
	flat_load_b64 v[12:13], v12, s[4:5] scale_offset
	s_wait_loadcnt_dscnt 0x0
	v_mad_nc_u64_u32 v[26:27], 0xa8, v3, v[12:13]
	s_clause 0x1
	flat_load_b64 v[36:37], v[26:27]
	flat_load_b64 v[102:103], v[26:27] offset:104
	s_wait_xcnt 0x2
	v_dual_cndmask_b32 v13, 0, v27 :: v_dual_cndmask_b32 v12, 0, v26
	s_branch .LBB8_40
.LBB8_39:
	v_mov_b64_e32 v[12:13], 0
                                        ; implicit-def: $vgpr102_vgpr103
                                        ; implicit-def: $vgpr36_vgpr37
.LBB8_40:
	v_subrev_nc_u32_e32 v16, 32, v18
	v_cmp_gt_i32_e32 vcc_lo, s1, v2
	v_mov_b64_e32 v[2:3], 0
	v_mov_b64_e32 v[48:49], 0
                                        ; implicit-def: $vgpr38_vgpr39
	s_delay_alu instid0(VALU_DEP_4)
	v_cmp_ge_i32_e64 s0, v0, v16
	s_and_b32 s9, s0, vcc_lo
	s_wait_xcnt 0x0
	s_and_saveexec_b32 s0, s9
	s_cbranch_execz .LBB8_42
; %bb.41:
	s_clause 0x1
	flat_load_b64 v[48:49], v[4:5] offset:56
	flat_load_b64 v[38:39], v[4:5] offset:104
.LBB8_42:
	s_wait_xcnt 0x0
	s_or_b32 exec_lo, exec_lo, s0
	v_mov_b64_e32 v[50:51], 0
	v_cmp_gt_i32_e64 s0, s1, v0
                                        ; implicit-def: $vgpr64_vgpr65
	s_and_saveexec_b32 s1, s0
	s_cbranch_execz .LBB8_44
; %bb.43:
	flat_load_b64 v[50:51], v[12:13] offset:56
	s_wait_loadcnt_dscnt 0x0
	flat_load_b64 v[64:65], v[50:51] scope:SCOPE_SYS
	s_wait_loadcnt 0x0
	flat_load_b128 v[2:5], v[12:13] offset:96
.LBB8_44:
	s_wait_xcnt 0x0
	s_or_b32 exec_lo, exec_lo, s1
	v_mov_b64_e32 v[52:53], 0
	s_wait_loadcnt 0x0
	v_and_b32_e32 v30, 0xffff, v15
	s_mov_b32 s12, exec_lo
	v_cmpx_ne_u64_e32 0, v[6:7]
	s_cbranch_execnz .LBB8_60
; %bb.45:
	s_or_b32 exec_lo, exec_lo, s12
	s_and_saveexec_b32 s1, s9
	s_cbranch_execnz .LBB8_333
.LBB8_46:
	s_or_b32 exec_lo, exec_lo, s1
	s_and_saveexec_b32 s1, s0
	s_cbranch_execz .LBB8_48
.LBB8_47:
	s_wait_dscnt 0x0
	flat_store_b64 v[26:27], v[4:5] offset:104
.LBB8_48:
	s_wait_xcnt 0x0
	s_or_b32 exec_lo, exec_lo, s1
	s_delay_alu instid0(SALU_CYCLE_1)
	s_mov_b32 s0, exec_lo
	v_cmpx_ne_u32_e32 32, v18
	s_cbranch_execz .LBB8_340
; %bb.49:
	s_mov_b32 s1, exec_lo
	v_cmpx_ne_u32_e64 v18, v30
	s_xor_b32 s1, exec_lo, s1
	s_cbranch_execz .LBB8_338
; %bb.50:
	v_and_b32_e32 v0, 31, v31
	s_mov_b32 s2, exec_lo
	s_delay_alu instid0(VALU_DEP_1)
	v_cmpx_eq_u32_e32 0, v0
	s_cbranch_execz .LBB8_337
; %bb.51:
	s_mov_b32 s4, exec_lo
	s_mov_b32 s3, exec_lo
	v_mbcnt_lo_u32_b32 v0, s4, 0
	global_wb scope:SCOPE_DEV
	s_wait_storecnt 0x0
	s_wait_loadcnt_dscnt 0x0
	global_inv scope:SCOPE_DEV
	v_cmpx_eq_u32_e32 0, v0
	s_cbranch_execz .LBB8_53
; %bb.52:
	s_bcnt1_i32_b32 s4, s4
	s_delay_alu instid0(SALU_CYCLE_1)
	v_dual_mov_b32 v1, 0 :: v_dual_mov_b32 v0, s4
	s_wait_loadcnt 0x0
	ds_add_u64 v0, v[0:1]
	s_trap 2
.LBB8_53:
	s_or_b32 exec_lo, exec_lo, s3
	s_trap 2
	ds_load_b64 v[2:3], v0
	s_wait_dscnt 0x0
	v_dual_mov_b32 v1, 0 :: v_dual_lshrrev_b32 v0, 5, v18
	s_mov_b32 s3, exec_lo
	s_delay_alu instid0(VALU_DEP_1) | instskip(NEXT) | instid1(VALU_DEP_1)
	v_add_nc_u64_e32 v[0:1], v[52:53], v[0:1]
	v_cmpx_lt_u64_e64 v[2:3], v[0:1]
	s_cbranch_execz .LBB8_336
; %bb.54:
	s_mov_b32 s4, 0
	s_mov_b32 s7, 0
                                        ; implicit-def: $sgpr5
                                        ; implicit-def: $sgpr6
	s_branch .LBB8_56
.LBB8_55:                               ;   in Loop: Header=BB8_56 Depth=1
	s_or_b32 exec_lo, exec_lo, s9
	s_delay_alu instid0(SALU_CYCLE_1) | instskip(NEXT) | instid1(SALU_CYCLE_1)
	s_and_b32 s8, exec_lo, s10
	s_or_b32 s4, s8, s4
	s_and_not1_b32 s5, s5, exec_lo
	s_and_b32 s8, s6, exec_lo
	s_delay_alu instid0(SALU_CYCLE_1)
	s_or_b32 s5, s5, s8
	s_and_not1_b32 exec_lo, exec_lo, s4
	s_cbranch_execz .LBB8_334
.LBB8_56:                               ; =>This Inner Loop Header: Depth=1
	s_add_co_i32 s7, s7, 1
	s_delay_alu instid0(SALU_CYCLE_1) | instskip(SKIP_1) | instid1(SALU_CYCLE_1)
	s_cmp_lg_u32 s7, 0x2710
	s_cselect_b32 s8, -1, 0
	s_and_b32 vcc_lo, exec_lo, s8
	s_cbranch_vccz .LBB8_58
; %bb.57:                               ;   in Loop: Header=BB8_56 Depth=1
	s_mov_b32 s10, -1
	s_or_b32 s6, s6, exec_lo
	s_and_saveexec_b32 s9, s8
	s_cbranch_execz .LBB8_55
	s_branch .LBB8_59
.LBB8_58:                               ;   in Loop: Header=BB8_56 Depth=1
	s_trap 2
	ds_load_b64 v[2:3], v0
	s_and_not1_b32 s8, s8, exec_lo
	s_mov_b32 s7, 0
	s_wait_loadcnt_dscnt 0x0
	flat_load_b32 v2, v[2:3] scope:SCOPE_SYS
	s_wait_loadcnt_dscnt 0x0
	global_inv scope:SCOPE_SYS
	v_cmp_eq_u32_e32 vcc_lo, 0, v2
	s_and_b32 s9, vcc_lo, exec_lo
	s_delay_alu instid0(SALU_CYCLE_1)
	s_or_b32 s8, s8, s9
	s_mov_b32 s10, -1
	s_or_b32 s6, s6, exec_lo
	s_and_saveexec_b32 s9, s8
	s_cbranch_execz .LBB8_55
.LBB8_59:                               ;   in Loop: Header=BB8_56 Depth=1
	s_sleep 1
	s_trap 2
	ds_load_b64 v[2:3], v0
	s_wait_dscnt 0x0
	s_and_not1_b32 s6, s6, exec_lo
	v_cmp_ge_u64_e32 vcc_lo, v[2:3], v[0:1]
	s_or_not1_b32 s10, vcc_lo, exec_lo
	s_branch .LBB8_55
.LBB8_60:
	v_cvt_f64_u32_e32 v[12:13], 0
	v_lshlrev_b32_e32 v15, 4, v14
	s_ashr_i32 s1, s2, 31
	v_mov_b64_e32 v[70:71], 0
	s_lshr_b32 s1, s1, 29
	s_wait_dscnt 0x1
	v_cmp_ne_u64_e64 s6, 0, v[48:49]
	s_add_co_i32 s2, s2, s1
	v_cmp_ne_u64_e64 s1, 0, v[50:51]
	s_ashr_i32 s13, s2, 7
	s_wait_dscnt 0x0
	v_cmp_ne_u64_e64 s2, 0, v[2:3]
	v_cmp_ne_u32_e64 s3, 32, v18
	v_cmp_ne_u32_e64 s4, v18, v30
	v_lshlrev_b32_e32 v47, 6, v18
	v_lshl_add_u64 v[96:97], v[0:1], 4, v[36:37]
	v_mov_b32_e32 v1, 1
	s_cmp_lt_i32 s10, 3
	s_mov_b32 s14, 0
	s_cselect_b32 s15, -1, 0
	s_add_co_i32 s16, s10, -2
	v_dual_lshrrev_b32 v80, 5, v18 :: v_dual_lshlrev_b32 v84, 3, v18
	v_ldexp_f64 v[52:53], v[12:13], 32
	v_mov_b32_e32 v12, 0
	v_and_b32_e32 v54, 0x1fffff0, v15
	v_dual_lshlrev_b32 v66, 3, v0 :: v_dual_bitop2_b32 v13, 31, v31 bitop3:0x40
	s_delay_alu instid0(VALU_DEP_3) | instskip(NEXT) | instid1(VALU_DEP_3)
	v_mov_b32_e32 v55, v12
	v_cvt_f64_u32_e32 v[16:17], v54
	s_delay_alu instid0(VALU_DEP_3) | instskip(NEXT) | instid1(VALU_DEP_4)
	v_ashrrev_i32_e32 v67, 31, v66
	v_cmp_eq_u32_e64 s5, 0, v13
	v_and_b32_e32 v13, 0x1fffff, v14
	v_dual_mov_b32 v19, v12 :: v_dual_mov_b32 v81, v12
	v_not_b32_e32 v44, v66
	s_delay_alu instid0(VALU_DEP_3) | instskip(NEXT) | instid1(VALU_DEP_3)
	v_lshlrev_b32_e32 v46, 7, v13
	v_lshlrev_b64_e32 v[98:99], 4, v[18:19]
	v_dual_add_f64 v[68:69], v[52:53], v[16:17] :: v_dual_mov_b32 v19, 0
	v_add_nc_u64_e32 v[16:17], v[20:21], v[66:67]
	v_mov_b64_e32 v[52:53], 0
	s_delay_alu instid0(VALU_DEP_2) | instskip(SKIP_1) | instid1(VALU_DEP_2)
	v_add_nc_u64_e32 v[82:83], v[16:17], v[10:11]
	v_add_nc_u64_e32 v[86:87], v[8:9], v[16:17]
	v_dual_mov_b32 v85, v12 :: v_dual_lshlrev_b32 v45, 3, v82
	s_branch .LBB8_62
.LBB8_61:                               ;   in Loop: Header=BB8_62 Depth=1
	s_wait_xcnt 0x0
	s_or_b32 exec_lo, exec_lo, s7
	v_add_nc_u64_e32 v[70:71], v[70:71], v[54:55]
	v_add_nc_u64_e32 v[34:35], 1, v[34:35]
	;; [unrolled: 1-line block ×4, first 2 shown]
	v_add_nc_u32_e32 v45, v45, v46
	v_cmp_ge_u64_e32 vcc_lo, v[70:71], v[6:7]
	s_or_b32 s14, vcc_lo, s14
	s_delay_alu instid0(SALU_CYCLE_1)
	s_and_not1_b32 exec_lo, exec_lo, s14
	s_cbranch_execz .LBB8_332
.LBB8_62:                               ; =>This Loop Header: Depth=1
                                        ;     Child Loop BB8_68 Depth 2
                                        ;     Child Loop BB8_87 Depth 2
	;; [unrolled: 1-line block ×9, first 2 shown]
                                        ;       Child Loop BB8_185 Depth 3
                                        ;       Child Loop BB8_204 Depth 3
	;; [unrolled: 1-line block ×3, first 2 shown]
                                        ;         Child Loop BB8_230 Depth 4
                                        ;       Child Loop BB8_264 Depth 3
                                        ;       Child Loop BB8_221 Depth 3
                                        ;     Child Loop BB8_282 Depth 2
                                        ;       Child Loop BB8_286 Depth 3
                                        ;     Child Loop BB8_320 Depth 2
	s_wait_loadcnt 0x0
	flat_load_b32 v14, v[22:23]
	s_wait_dscnt 0x1
	v_sub_nc_u64_e32 v[16:17], v[6:7], v[70:71]
	v_add_nc_u64_e32 v[112:113], v[70:71], v[20:21]
	s_mov_b32 s7, exec_lo
	s_delay_alu instid0(VALU_DEP_2) | instskip(NEXT) | instid1(VALU_DEP_3)
	v_cvt_f64_u32_e32 v[100:101], v17
	v_cvt_f64_u32_e32 v[16:17], v16
	s_delay_alu instid0(VALU_DEP_2) | instskip(NEXT) | instid1(VALU_DEP_1)
	v_ldexp_f64 v[100:101], v[100:101], 32
	v_add_f64_e32 v[16:17], v[100:101], v[16:17]
	s_wait_loadcnt_dscnt 0x0
	v_dual_max_num_f64 v[100:101], v[68:69], v[68:69] :: v_dual_ashrrev_i32 v15, 31, v14
	s_delay_alu instid0(VALU_DEP_1) | instskip(SKIP_1) | instid1(VALU_DEP_2)
	v_min_num_f64_e32 v[16:17], v[100:101], v[16:17]
	v_add_nc_u64_e32 v[100:101], v[8:9], v[112:113]
	v_cvt_i32_f64_e32 v13, v[16:17]
	s_delay_alu instid0(VALU_DEP_4) | instskip(SKIP_1) | instid1(VALU_DEP_3)
	v_mul_u64_e32 v[16:17], v[24:25], v[14:15]
	v_add_nc_u64_e32 v[14:15], v[10:11], v[112:113]
	v_max_i32_e32 v58, 0, v13
	s_delay_alu instid0(VALU_DEP_1) | instskip(NEXT) | instid1(VALU_DEP_1)
	v_add_nc_u32_e32 v13, 7, v58
	v_ashrrev_i32_e32 v114, 31, v13
	s_delay_alu instid0(VALU_DEP_1) | instskip(SKIP_1) | instid1(VALU_DEP_2)
	v_lshrrev_b32_e32 v116, 29, v114
	v_add_nc_u64_e32 v[114:115], v[100:101], v[16:17]
	v_add_nc_u32_e32 v13, v13, v116
	s_delay_alu instid0(VALU_DEP_1) | instskip(SKIP_1) | instid1(VALU_DEP_3)
	v_ashrrev_i32_e32 v56, 3, v13
	s_wait_xcnt 0x0
	v_cmpx_ne_u64_e64 v[14:15], v[114:115]
	s_xor_b32 s8, exec_lo, s7
	s_cbranch_execz .LBB8_128
; %bb.63:                               ;   in Loop: Header=BB8_62 Depth=1
	s_and_saveexec_b32 s17, s1
	s_cbranch_execz .LBB8_79
; %bb.64:                               ;   in Loop: Header=BB8_62 Depth=1
	v_add_nc_u64_e32 v[14:15], 1, v[4:5]
	v_add_nc_u64_e32 v[114:115], 8, v[64:65]
	s_mov_b32 s18, exec_lo
	s_delay_alu instid0(VALU_DEP_1)
	v_cmpx_lt_u64_e64 v[114:115], v[14:15]
	s_cbranch_execz .LBB8_76
; %bb.65:                               ;   in Loop: Header=BB8_62 Depth=1
	s_mov_b32 s19, 0
	s_mov_b32 s23, 0
	v_cmp_eq_u32_e32 vcc_lo, 0, v19
                                        ; implicit-def: $sgpr20
                                        ; implicit-def: $sgpr21
                                        ; implicit-def: $sgpr22
	s_branch .LBB8_68
.LBB8_66:                               ;   in Loop: Header=BB8_68 Depth=2
	s_or_b32 exec_lo, exec_lo, s28
	v_mov_b32_e32 v13, 0
	s_and_not1_b32 s7, s22, exec_lo
	s_and_b32 s22, s26, exec_lo
	s_and_not1_b32 s21, s21, exec_lo
	s_and_b32 s25, s25, exec_lo
	s_or_b32 s22, s7, s22
	s_or_b32 s21, s21, s25
.LBB8_67:                               ;   in Loop: Header=BB8_68 Depth=2
	s_or_b32 exec_lo, exec_lo, s24
	s_delay_alu instid0(SALU_CYCLE_1) | instskip(NEXT) | instid1(SALU_CYCLE_1)
	s_and_b32 s7, exec_lo, s21
	s_or_b32 s19, s7, s19
	s_and_not1_b32 s7, s20, exec_lo
	s_and_b32 s20, s22, exec_lo
	s_delay_alu instid0(SALU_CYCLE_1)
	s_or_b32 s20, s7, s20
	s_and_not1_b32 exec_lo, exec_lo, s19
	s_cbranch_execz .LBB8_73
.LBB8_68:                               ;   Parent Loop BB8_62 Depth=1
                                        ; =>  This Inner Loop Header: Depth=2
	s_sleep 1
	s_wait_loadcnt_dscnt 0x0
	flat_load_b64 v[64:65], v[50:51] scope:SCOPE_DEV
	v_mov_b32_e32 v13, v19
	s_or_b32 s22, s22, exec_lo
	s_or_b32 s21, s21, exec_lo
                                        ; implicit-def: $vgpr5
	s_wait_xcnt 0x0
	s_and_saveexec_b32 s24, vcc_lo
	s_cbranch_execz .LBB8_67
; %bb.69:                               ;   in Loop: Header=BB8_68 Depth=2
	s_add_co_i32 s23, s23, 1
	s_mov_b32 s25, -1
	s_cmp_lg_u32 s23, 0x2710
	s_mov_b32 s26, -1
	s_cselect_b32 s27, -1, 0
	s_cmp_eq_u32 s23, 0x2710
                                        ; implicit-def: $vgpr5
	s_cbranch_scc1 .LBB8_71
; %bb.70:                               ;   in Loop: Header=BB8_68 Depth=2
	s_and_saveexec_b32 s28, s27
	s_cbranch_execz .LBB8_66
	s_branch .LBB8_72
.LBB8_71:                               ;   in Loop: Header=BB8_68 Depth=2
	s_trap 2
	ds_load_b64 v[114:115], v0
	s_and_not1_b32 s23, s27, exec_lo
	s_mov_b32 s26, 0
	s_wait_storecnt 0x0
	s_wait_loadcnt_dscnt 0x0
	flat_load_b32 v5, v[114:115] scope:SCOPE_SYS
	s_wait_loadcnt_dscnt 0x0
	global_inv scope:SCOPE_SYS
	v_cmp_eq_u32_e64 s7, 0, v5
	s_and_b32 s7, s7, exec_lo
	s_delay_alu instid0(SALU_CYCLE_1)
	s_or_b32 s27, s23, s7
	s_mov_b32 s23, 0
	s_and_saveexec_b32 s28, s27
	s_cbranch_execz .LBB8_66
.LBB8_72:                               ;   in Loop: Header=BB8_68 Depth=2
	s_wait_loadcnt_dscnt 0x0
	v_add_nc_u64_e32 v[114:115], 8, v[64:65]
	s_or_b32 s26, s26, exec_lo
	s_delay_alu instid0(VALU_DEP_1)
	v_cmp_ge_u64_e64 s7, v[114:115], v[14:15]
	s_or_not1_b32 s25, s7, exec_lo
	s_branch .LBB8_66
.LBB8_73:                               ;   in Loop: Header=BB8_62 Depth=1
	s_or_b32 exec_lo, exec_lo, s19
	s_xor_b32 s7, s20, -1
	s_delay_alu instid0(SALU_CYCLE_1) | instskip(NEXT) | instid1(SALU_CYCLE_1)
	s_and_saveexec_b32 s19, s7
	s_xor_b32 s7, exec_lo, s19
	s_cbranch_execz .LBB8_75
; %bb.74:                               ;   in Loop: Header=BB8_62 Depth=1
	v_mov_b32_e32 v13, 1
	s_wait_storecnt 0x0
	s_wait_loadcnt_dscnt 0x0
	ds_store_b32 v0, v5
	s_trap 2
.LBB8_75:                               ;   in Loop: Header=BB8_62 Depth=1
	s_or_b32 exec_lo, exec_lo, s7
	v_mov_b32_e32 v19, v13
.LBB8_76:                               ;   in Loop: Header=BB8_62 Depth=1
	s_or_b32 exec_lo, exec_lo, s18
	s_and_saveexec_b32 s7, s2
	s_cbranch_execz .LBB8_78
; %bb.77:                               ;   in Loop: Header=BB8_62 Depth=1
	v_and_b32_e32 v114, 0x7ffffff8, v4
	v_dual_mov_b32 v115, v12 :: v_dual_bitop2_b32 v4, 7, v4 bitop3:0x40
	s_delay_alu instid0(VALU_DEP_1) | instskip(NEXT) | instid1(VALU_DEP_2)
	v_cmp_eq_u64_e32 vcc_lo, 0x7ffffff8, v[114:115]
	v_mad_nc_u64_u32 v[4:5], v4, 24, v[2:3]
	v_cndmask_b32_e64 v13, v56, s13, vcc_lo
	s_delay_alu instid0(VALU_DEP_1) | instskip(NEXT) | instid1(VALU_DEP_1)
	v_lshlrev_b32_e32 v114, 4, v13
	v_ashrrev_i32_e32 v115, 31, v114
	flat_store_b64 v[4:5], v[114:115] offset:8 scope:SCOPE_SYS
	s_wait_storecnt 0x0
.LBB8_78:                               ;   in Loop: Header=BB8_62 Depth=1
	s_wait_xcnt 0x0
	s_or_b32 exec_lo, exec_lo, s7
	v_mov_b64_e32 v[4:5], v[14:15]
.LBB8_79:                               ;   in Loop: Header=BB8_62 Depth=1
	s_or_b32 exec_lo, exec_lo, s17
	s_and_saveexec_b32 s7, s3
	s_cbranch_execz .LBB8_98
; %bb.80:                               ;   in Loop: Header=BB8_62 Depth=1
	s_and_saveexec_b32 s17, s4
	s_delay_alu instid0(SALU_CYCLE_1)
	s_xor_b32 s17, exec_lo, s17
	s_cbranch_execz .LBB8_95
; %bb.81:                               ;   in Loop: Header=BB8_62 Depth=1
	s_and_saveexec_b32 s18, s5
	s_cbranch_execz .LBB8_94
; %bb.82:                               ;   in Loop: Header=BB8_62 Depth=1
	s_mov_b32 s20, exec_lo
	s_mov_b32 s19, exec_lo
	v_mbcnt_lo_u32_b32 v13, s20, 0
	global_wb scope:SCOPE_DEV
	s_wait_storecnt 0x0
	s_wait_loadcnt_dscnt 0x0
	global_inv scope:SCOPE_DEV
	v_cmpx_eq_u32_e32 0, v13
	s_cbranch_execz .LBB8_84
; %bb.83:                               ;   in Loop: Header=BB8_62 Depth=1
	s_bcnt1_i32_b32 s20, s20
	s_delay_alu instid0(SALU_CYCLE_1)
	v_dual_mov_b32 v15, v12 :: v_dual_mov_b32 v14, s20
	s_wait_loadcnt 0x0
	ds_add_u64 v0, v[14:15]
	s_trap 2
.LBB8_84:                               ;   in Loop: Header=BB8_62 Depth=1
	s_or_b32 exec_lo, exec_lo, s19
	s_trap 2
	ds_load_b64 v[14:15], v0
	s_wait_dscnt 0x0
	v_add_nc_u64_e32 v[52:53], v[52:53], v[80:81]
	s_mov_b32 s19, exec_lo
	s_delay_alu instid0(VALU_DEP_1)
	v_cmpx_lt_u64_e64 v[14:15], v[52:53]
	s_cbranch_execz .LBB8_93
; %bb.85:                               ;   in Loop: Header=BB8_62 Depth=1
	s_mov_b32 s20, 0
	s_mov_b32 s23, 0
                                        ; implicit-def: $sgpr21
                                        ; implicit-def: $sgpr22
	s_branch .LBB8_87
.LBB8_86:                               ;   in Loop: Header=BB8_87 Depth=2
	s_or_b32 exec_lo, exec_lo, s25
	s_delay_alu instid0(SALU_CYCLE_1) | instskip(NEXT) | instid1(SALU_CYCLE_1)
	s_and_b32 s24, exec_lo, s26
	s_or_b32 s20, s24, s20
	s_and_not1_b32 s21, s21, exec_lo
	s_and_b32 s24, s22, exec_lo
	s_delay_alu instid0(SALU_CYCLE_1)
	s_or_b32 s21, s21, s24
	s_and_not1_b32 exec_lo, exec_lo, s20
	s_cbranch_execz .LBB8_91
.LBB8_87:                               ;   Parent Loop BB8_62 Depth=1
                                        ; =>  This Inner Loop Header: Depth=2
	s_add_co_i32 s23, s23, 1
	s_delay_alu instid0(SALU_CYCLE_1) | instskip(SKIP_1) | instid1(SALU_CYCLE_1)
	s_cmp_lg_u32 s23, 0x2710
	s_cselect_b32 s24, -1, 0
	s_and_b32 vcc_lo, exec_lo, s24
	s_cbranch_vccz .LBB8_89
; %bb.88:                               ;   in Loop: Header=BB8_87 Depth=2
	s_mov_b32 s26, -1
	s_or_b32 s22, s22, exec_lo
	s_and_saveexec_b32 s25, s24
	s_cbranch_execz .LBB8_86
	s_branch .LBB8_90
.LBB8_89:                               ;   in Loop: Header=BB8_87 Depth=2
	s_trap 2
	ds_load_b64 v[14:15], v0
	s_and_not1_b32 s24, s24, exec_lo
	s_mov_b32 s23, 0
	s_wait_loadcnt_dscnt 0x0
	flat_load_b32 v13, v[14:15] scope:SCOPE_SYS
	s_wait_loadcnt_dscnt 0x0
	global_inv scope:SCOPE_SYS
	v_cmp_eq_u32_e32 vcc_lo, 0, v13
	s_and_b32 s25, vcc_lo, exec_lo
	s_delay_alu instid0(SALU_CYCLE_1)
	s_or_b32 s24, s24, s25
	s_mov_b32 s26, -1
	s_or_b32 s22, s22, exec_lo
	s_and_saveexec_b32 s25, s24
	s_cbranch_execz .LBB8_86
.LBB8_90:                               ;   in Loop: Header=BB8_87 Depth=2
	s_sleep 1
	s_trap 2
	ds_load_b64 v[14:15], v0
	s_wait_dscnt 0x0
	s_and_not1_b32 s22, s22, exec_lo
	v_cmp_ge_u64_e32 vcc_lo, v[14:15], v[52:53]
	s_or_not1_b32 s26, vcc_lo, exec_lo
	s_branch .LBB8_86
.LBB8_91:                               ;   in Loop: Header=BB8_62 Depth=1
	s_or_b32 exec_lo, exec_lo, s20
	s_and_saveexec_b32 s20, s21
	s_delay_alu instid0(SALU_CYCLE_1)
	s_xor_b32 s20, exec_lo, s20
	s_cbranch_execz .LBB8_93
; %bb.92:                               ;   in Loop: Header=BB8_62 Depth=1
	ds_store_b32 v0, v1
	s_trap 2
.LBB8_93:                               ;   in Loop: Header=BB8_62 Depth=1
	s_or_b32 exec_lo, exec_lo, s19
	;;#ASMSTART
	s_wakeup
	;;#ASMEND
.LBB8_94:                               ;   in Loop: Header=BB8_62 Depth=1
	s_or_b32 exec_lo, exec_lo, s18
.LBB8_95:                               ;   in Loop: Header=BB8_62 Depth=1
	s_and_not1_saveexec_b32 s17, s17
	s_cbranch_execz .LBB8_97
; %bb.96:                               ;   in Loop: Header=BB8_62 Depth=1
	global_wb scope:SCOPE_DEV
	s_wait_storecnt 0x0
	s_wait_loadcnt_dscnt 0x0
	global_inv scope:SCOPE_DEV
	s_barrier_signal -1
	s_barrier_wait -1
.LBB8_97:                               ;   in Loop: Header=BB8_62 Depth=1
	s_or_b32 exec_lo, exec_lo, s17
.LBB8_98:                               ;   in Loop: Header=BB8_62 Depth=1
	s_delay_alu instid0(SALU_CYCLE_1) | instskip(SKIP_2) | instid1(VALU_DEP_1)
	s_or_b32 exec_lo, exec_lo, s7
	v_dual_mov_b32 v114, v0 :: v_dual_sub_nc_u32 v13, v58, v66
	s_mov_b32 s17, exec_lo
	v_cmpx_lt_i32_e32 0, v13
	s_cbranch_execz .LBB8_124
; %bb.99:                               ;   in Loop: Header=BB8_62 Depth=1
	v_dual_add_nc_u32 v15, 1, v102 :: v_dual_bitop2_b32 v14, 7, v102 bitop3:0x40
	v_add_nc_u64_e32 v[116:117], v[86:87], v[16:17]
	v_mov_b64_e32 v[118:119], 0
	v_dual_mov_b32 v57, v45 :: v_dual_mov_b32 v114, v0
	s_delay_alu instid0(VALU_DEP_4) | instskip(SKIP_1) | instid1(VALU_DEP_1)
	v_mul_lo_u32 v40, v14, s13
	s_mov_b32 s18, 0
	v_dual_add_nc_u32 v115, v44, v58 :: v_dual_ashrrev_i32 v41, 31, v40
	s_delay_alu instid0(VALU_DEP_1)
	v_lshl_add_u64 v[40:41], v[40:41], 4, v[96:97]
	s_branch .LBB8_101
.LBB8_100:                              ;   in Loop: Header=BB8_101 Depth=2
	v_dual_sub_nc_u32 v13, v13, v84 :: v_dual_add_nc_u32 v114, v114, v18
	v_add_nc_u64_e32 v[118:119], v[118:119], v[84:85]
	s_wait_xcnt 0x0
	v_add_nc_u64_e32 v[40:41], v[40:41], v[98:99]
	v_add_nc_u32_e32 v57, v57, v47
	v_cmp_gt_i32_e32 vcc_lo, 1, v13
	s_or_b32 s18, vcc_lo, s18
	s_delay_alu instid0(SALU_CYCLE_1)
	s_and_not1_b32 exec_lo, exec_lo, s18
	s_cbranch_execz .LBB8_123
.LBB8_101:                              ;   Parent Loop BB8_62 Depth=1
                                        ; =>  This Inner Loop Header: Depth=2
	v_add_nc_u64_e32 v[42:43], v[82:83], v[118:119]
	s_mov_b32 s7, exec_lo
	v_dual_mov_b32 v59, 0 :: v_dual_mov_b32 v60, 0
	s_delay_alu instid0(VALU_DEP_2)
	v_dual_mov_b32 v17, v43 :: v_dual_bitop2_b32 v16, -4, v42 bitop3:0x40
	v_min_u32_e32 v43, 8, v13
	v_and_b32_e32 v42, 3, v42
	global_load_b32 v14, v[16:17], off th:TH_LOAD_NT
	v_add_nc_u32_e32 v42, v42, v43
	s_wait_xcnt 0x0
	s_delay_alu instid0(VALU_DEP_1)
	v_cmpx_lt_u32_e32 4, v42
	s_cbranch_execz .LBB8_103
; %bb.102:                              ;   in Loop: Header=BB8_101 Depth=2
	global_load_b32 v60, v[16:17], off offset:4 th:TH_LOAD_NT
.LBB8_103:                              ;   in Loop: Header=BB8_101 Depth=2
	s_wait_xcnt 0x0
	s_or_b32 exec_lo, exec_lo, s7
	v_mov_b32_e32 v43, v12
	s_mov_b32 s7, exec_lo
	s_delay_alu instid0(VALU_DEP_1)
	v_cmpx_lt_u64_e32 8, v[42:43]
	s_cbranch_execz .LBB8_105
; %bb.104:                              ;   in Loop: Header=BB8_101 Depth=2
	global_load_b32 v59, v[16:17], off offset:8 th:TH_LOAD_NT
.LBB8_105:                              ;   in Loop: Header=BB8_101 Depth=2
	s_wait_xcnt 0x0
	s_or_b32 exec_lo, exec_lo, s7
	v_add_nc_u64_e32 v[42:43], v[116:117], v[118:119]
	v_cmp_lt_u32_e32 vcc_lo, 7, v13
	s_wait_loadcnt 0x0
	v_alignbit_b32 v14, v60, v14, v57
	v_alignbit_b32 v16, v59, v60, v57
	v_mov_b32_e32 v17, v15
	s_mov_b32 s7, -1
	s_cmp_lg_u32 vcc_lo, exec_lo
	global_store_b128 v[40:41], v[14:17], off
	s_cbranch_scc0 .LBB8_121
; %bb.106:                              ;   in Loop: Header=BB8_101 Depth=2
	s_mov_b32 s19, exec_lo
	flat_store_b8 v[42:43], v14
	s_wait_xcnt 0x0
	v_cmpx_ne_u32_e64 v115, v118
	s_cbranch_execz .LBB8_108
; %bb.107:                              ;   in Loop: Header=BB8_101 Depth=2
	v_lshrrev_b32_e32 v17, 8, v14
	flat_store_b8 v[42:43], v17 offset:1
.LBB8_108:                              ;   in Loop: Header=BB8_101 Depth=2
	s_wait_xcnt 0x0
	s_or_b32 exec_lo, exec_lo, s19
	s_delay_alu instid0(SALU_CYCLE_1)
	s_mov_b32 s19, exec_lo
	v_cmpx_lt_u32_e32 2, v13
	s_cbranch_execz .LBB8_110
; %bb.109:                              ;   in Loop: Header=BB8_101 Depth=2
	flat_store_d16_hi_b8 v[42:43], v14 offset:2
.LBB8_110:                              ;   in Loop: Header=BB8_101 Depth=2
	s_wait_xcnt 0x0
	s_or_b32 exec_lo, exec_lo, s19
	s_delay_alu instid0(SALU_CYCLE_1)
	s_mov_b32 s19, exec_lo
	v_cmpx_lt_u32_e32 3, v13
	s_cbranch_execz .LBB8_112
; %bb.111:                              ;   in Loop: Header=BB8_101 Depth=2
	v_lshrrev_b32_e32 v17, 24, v14
	flat_store_b8 v[42:43], v17 offset:3
.LBB8_112:                              ;   in Loop: Header=BB8_101 Depth=2
	s_wait_xcnt 0x0
	s_or_b32 exec_lo, exec_lo, s19
	s_delay_alu instid0(SALU_CYCLE_1)
	s_mov_b32 s19, exec_lo
	v_cmpx_lt_u32_e32 4, v13
	s_cbranch_execz .LBB8_114
; %bb.113:                              ;   in Loop: Header=BB8_101 Depth=2
	flat_store_b8 v[42:43], v16 offset:4
.LBB8_114:                              ;   in Loop: Header=BB8_101 Depth=2
	s_wait_xcnt 0x0
	s_or_b32 exec_lo, exec_lo, s19
	s_delay_alu instid0(SALU_CYCLE_1)
	s_mov_b32 s19, exec_lo
	v_cmpx_lt_u32_e32 5, v13
	s_cbranch_execz .LBB8_116
; %bb.115:                              ;   in Loop: Header=BB8_101 Depth=2
	v_lshrrev_b32_e32 v17, 8, v16
	flat_store_b8 v[42:43], v17 offset:5
.LBB8_116:                              ;   in Loop: Header=BB8_101 Depth=2
	s_wait_xcnt 0x0
	s_or_b32 exec_lo, exec_lo, s19
	s_delay_alu instid0(SALU_CYCLE_1)
	s_mov_b32 s19, exec_lo
	v_cmpx_lt_u32_e32 6, v13
	s_cbranch_execz .LBB8_118
; %bb.117:                              ;   in Loop: Header=BB8_101 Depth=2
	flat_store_d16_hi_b8 v[42:43], v16 offset:6
.LBB8_118:                              ;   in Loop: Header=BB8_101 Depth=2
	s_wait_xcnt 0x0
	s_or_b32 exec_lo, exec_lo, s19
	s_and_saveexec_b32 s7, vcc_lo
	s_cbranch_execz .LBB8_120
; %bb.119:                              ;   in Loop: Header=BB8_101 Depth=2
	v_lshrrev_b32_e32 v17, 24, v16
	flat_store_b8 v[42:43], v17 offset:7
.LBB8_120:                              ;   in Loop: Header=BB8_101 Depth=2
	s_wait_xcnt 0x0
	s_or_b32 exec_lo, exec_lo, s7
	s_mov_b32 s7, 0
.LBB8_121:                              ;   in Loop: Header=BB8_101 Depth=2
	s_delay_alu instid0(SALU_CYCLE_1)
	s_and_b32 vcc_lo, exec_lo, s7
	s_cbranch_vccz .LBB8_100
; %bb.122:                              ;   in Loop: Header=BB8_101 Depth=2
	v_dual_mov_b32 v60, v14 :: v_dual_mov_b32 v61, v16
	global_store_b64 v[42:43], v[60:61], off
	s_branch .LBB8_100
.LBB8_123:                              ;   in Loop: Header=BB8_62 Depth=1
	s_or_b32 exec_lo, exec_lo, s18
.LBB8_124:                              ;   in Loop: Header=BB8_62 Depth=1
	s_delay_alu instid0(SALU_CYCLE_1) | instskip(SKIP_3) | instid1(VALU_DEP_2)
	s_or_b32 exec_lo, exec_lo, s17
	v_and_b32_e32 v14, 0x7ffffff8, v102
	v_mov_b32_e32 v15, v12
	v_cmp_gt_i32_e64 s7, s13, v114
	v_cmp_eq_u64_e32 vcc_lo, 0x7ffffff8, v[14:15]
	s_and_b32 s17, vcc_lo, s7
	s_delay_alu instid0(SALU_CYCLE_1)
	s_and_saveexec_b32 s7, s17
	s_cbranch_execz .LBB8_127
; %bb.125:                              ;   in Loop: Header=BB8_62 Depth=1
	v_and_b32_e32 v13, 7, v102
	v_ashrrev_i32_e32 v115, 31, v114
	s_mov_b32 s17, 0
	s_delay_alu instid0(VALU_DEP_2) | instskip(SKIP_1) | instid1(VALU_DEP_2)
	v_mul_lo_u32 v14, v13, s13
	v_add_nc_u32_e32 v13, 1, v102
	v_ashrrev_i32_e32 v15, 31, v14
	s_delay_alu instid0(VALU_DEP_1) | instskip(NEXT) | instid1(VALU_DEP_1)
	v_lshlrev_b64_e32 v[14:15], 4, v[14:15]
	v_lshl_add_u64 v[14:15], v[114:115], 4, v[14:15]
	s_delay_alu instid0(VALU_DEP_1)
	v_add_nc_u64_e32 v[16:17], v[36:37], v[14:15]
.LBB8_126:                              ;   Parent Loop BB8_62 Depth=1
                                        ; =>  This Inner Loop Header: Depth=2
	v_dual_mov_b32 v14, v12 :: v_dual_add_nc_u32 v114, v114, v18
	v_mov_b32_e32 v15, v13
	s_delay_alu instid0(VALU_DEP_2) | instskip(SKIP_4) | instid1(SALU_CYCLE_1)
	v_cmp_le_i32_e32 vcc_lo, s13, v114
	global_store_b128 v[16:17], v[12:15], off
	s_wait_xcnt 0x0
	v_add_nc_u64_e32 v[16:17], v[16:17], v[98:99]
	s_or_b32 s17, vcc_lo, s17
	s_and_not1_b32 exec_lo, exec_lo, s17
	s_cbranch_execnz .LBB8_126
.LBB8_127:                              ;   in Loop: Header=BB8_62 Depth=1
	s_or_b32 exec_lo, exec_lo, s7
.LBB8_128:                              ;   in Loop: Header=BB8_62 Depth=1
	s_and_not1_saveexec_b32 s8, s8
	s_cbranch_execz .LBB8_176
; %bb.129:                              ;   in Loop: Header=BB8_62 Depth=1
	s_and_saveexec_b32 s17, s1
	s_cbranch_execz .LBB8_145
; %bb.130:                              ;   in Loop: Header=BB8_62 Depth=1
	v_add_nc_u64_e32 v[14:15], 1, v[4:5]
	s_wait_loadcnt_dscnt 0x0
	v_add_nc_u64_e32 v[16:17], 8, v[64:65]
	s_mov_b32 s18, exec_lo
	s_delay_alu instid0(VALU_DEP_1)
	v_cmpx_lt_u64_e64 v[16:17], v[14:15]
	s_cbranch_execz .LBB8_142
; %bb.131:                              ;   in Loop: Header=BB8_62 Depth=1
	s_mov_b32 s19, 0
	s_mov_b32 s23, 0
	v_cmp_eq_u32_e32 vcc_lo, 0, v19
                                        ; implicit-def: $sgpr20
                                        ; implicit-def: $sgpr21
                                        ; implicit-def: $sgpr22
	s_branch .LBB8_134
.LBB8_132:                              ;   in Loop: Header=BB8_134 Depth=2
	s_or_b32 exec_lo, exec_lo, s28
	v_mov_b32_e32 v13, 0
	s_and_not1_b32 s7, s22, exec_lo
	s_and_b32 s22, s26, exec_lo
	s_and_not1_b32 s21, s21, exec_lo
	s_and_b32 s25, s25, exec_lo
	s_or_b32 s22, s7, s22
	s_or_b32 s21, s21, s25
.LBB8_133:                              ;   in Loop: Header=BB8_134 Depth=2
	s_or_b32 exec_lo, exec_lo, s24
	s_delay_alu instid0(SALU_CYCLE_1) | instskip(NEXT) | instid1(SALU_CYCLE_1)
	s_and_b32 s7, exec_lo, s21
	s_or_b32 s19, s7, s19
	s_and_not1_b32 s7, s20, exec_lo
	s_and_b32 s20, s22, exec_lo
	s_delay_alu instid0(SALU_CYCLE_1)
	s_or_b32 s20, s7, s20
	s_and_not1_b32 exec_lo, exec_lo, s19
	s_cbranch_execz .LBB8_139
.LBB8_134:                              ;   Parent Loop BB8_62 Depth=1
                                        ; =>  This Inner Loop Header: Depth=2
	s_sleep 1
	s_wait_loadcnt_dscnt 0x0
	flat_load_b64 v[64:65], v[50:51] scope:SCOPE_DEV
	v_mov_b32_e32 v13, v19
	s_or_b32 s22, s22, exec_lo
	s_or_b32 s21, s21, exec_lo
                                        ; implicit-def: $vgpr5
	s_wait_xcnt 0x0
	s_and_saveexec_b32 s24, vcc_lo
	s_cbranch_execz .LBB8_133
; %bb.135:                              ;   in Loop: Header=BB8_134 Depth=2
	s_add_co_i32 s23, s23, 1
	s_mov_b32 s25, -1
	s_cmp_lg_u32 s23, 0x2710
	s_mov_b32 s26, -1
	s_cselect_b32 s27, -1, 0
	s_cmp_eq_u32 s23, 0x2710
                                        ; implicit-def: $vgpr5
	s_cbranch_scc1 .LBB8_137
; %bb.136:                              ;   in Loop: Header=BB8_134 Depth=2
	s_and_saveexec_b32 s28, s27
	s_cbranch_execz .LBB8_132
	s_branch .LBB8_138
.LBB8_137:                              ;   in Loop: Header=BB8_134 Depth=2
	s_trap 2
	ds_load_b64 v[16:17], v0
	s_and_not1_b32 s23, s27, exec_lo
	s_mov_b32 s26, 0
	s_wait_storecnt 0x0
	s_wait_loadcnt_dscnt 0x0
	flat_load_b32 v5, v[16:17] scope:SCOPE_SYS
	s_wait_loadcnt_dscnt 0x0
	global_inv scope:SCOPE_SYS
	v_cmp_eq_u32_e64 s7, 0, v5
	s_and_b32 s7, s7, exec_lo
	s_delay_alu instid0(SALU_CYCLE_1)
	s_or_b32 s27, s23, s7
	s_mov_b32 s23, 0
	s_and_saveexec_b32 s28, s27
	s_cbranch_execz .LBB8_132
.LBB8_138:                              ;   in Loop: Header=BB8_134 Depth=2
	s_wait_loadcnt_dscnt 0x0
	v_add_nc_u64_e32 v[16:17], 8, v[64:65]
	s_or_b32 s26, s26, exec_lo
	s_delay_alu instid0(VALU_DEP_1)
	v_cmp_ge_u64_e64 s7, v[16:17], v[14:15]
	s_or_not1_b32 s25, s7, exec_lo
	s_branch .LBB8_132
.LBB8_139:                              ;   in Loop: Header=BB8_62 Depth=1
	s_or_b32 exec_lo, exec_lo, s19
	s_xor_b32 s7, s20, -1
	s_delay_alu instid0(SALU_CYCLE_1) | instskip(NEXT) | instid1(SALU_CYCLE_1)
	s_and_saveexec_b32 s19, s7
	s_xor_b32 s7, exec_lo, s19
	s_cbranch_execz .LBB8_141
; %bb.140:                              ;   in Loop: Header=BB8_62 Depth=1
	v_mov_b32_e32 v13, 1
	s_wait_storecnt 0x0
	s_wait_loadcnt_dscnt 0x0
	ds_store_b32 v0, v5
	s_trap 2
.LBB8_141:                              ;   in Loop: Header=BB8_62 Depth=1
	s_or_b32 exec_lo, exec_lo, s7
	v_mov_b32_e32 v19, v13
.LBB8_142:                              ;   in Loop: Header=BB8_62 Depth=1
	s_or_b32 exec_lo, exec_lo, s18
	s_and_saveexec_b32 s7, s2
	s_cbranch_execz .LBB8_144
; %bb.143:                              ;   in Loop: Header=BB8_62 Depth=1
	v_and_b32_e32 v16, 0x7ffffff8, v4
	v_dual_mov_b32 v17, v12 :: v_dual_bitop2_b32 v4, 7, v4 bitop3:0x40
	s_delay_alu instid0(VALU_DEP_1) | instskip(NEXT) | instid1(VALU_DEP_2)
	v_cmp_eq_u64_e32 vcc_lo, 0x7ffffff8, v[16:17]
	v_mad_nc_u64_u32 v[4:5], v4, 24, v[2:3]
	v_cndmask_b32_e64 v13, v56, s13, vcc_lo
	s_delay_alu instid0(VALU_DEP_1) | instskip(NEXT) | instid1(VALU_DEP_1)
	v_lshlrev_b32_e32 v16, 4, v13
	v_ashrrev_i32_e32 v17, 31, v16
	flat_store_b64 v[4:5], v[16:17] offset:8 scope:SCOPE_SYS
	s_wait_storecnt 0x0
.LBB8_144:                              ;   in Loop: Header=BB8_62 Depth=1
	s_wait_xcnt 0x0
	s_or_b32 exec_lo, exec_lo, s7
	v_mov_b64_e32 v[4:5], v[14:15]
.LBB8_145:                              ;   in Loop: Header=BB8_62 Depth=1
	s_or_b32 exec_lo, exec_lo, s17
	s_and_saveexec_b32 s7, s3
	s_cbranch_execz .LBB8_164
; %bb.146:                              ;   in Loop: Header=BB8_62 Depth=1
	s_and_saveexec_b32 s17, s4
	s_delay_alu instid0(SALU_CYCLE_1)
	s_xor_b32 s17, exec_lo, s17
	s_cbranch_execz .LBB8_161
; %bb.147:                              ;   in Loop: Header=BB8_62 Depth=1
	s_and_saveexec_b32 s18, s5
	s_cbranch_execz .LBB8_160
; %bb.148:                              ;   in Loop: Header=BB8_62 Depth=1
	s_mov_b32 s20, exec_lo
	s_mov_b32 s19, exec_lo
	v_mbcnt_lo_u32_b32 v13, s20, 0
	global_wb scope:SCOPE_DEV
	s_wait_storecnt 0x0
	s_wait_loadcnt_dscnt 0x0
	global_inv scope:SCOPE_DEV
	v_cmpx_eq_u32_e32 0, v13
	s_cbranch_execz .LBB8_150
; %bb.149:                              ;   in Loop: Header=BB8_62 Depth=1
	s_bcnt1_i32_b32 s20, s20
	s_delay_alu instid0(SALU_CYCLE_1)
	v_dual_mov_b32 v15, v12 :: v_dual_mov_b32 v14, s20
	s_wait_loadcnt 0x0
	ds_add_u64 v0, v[14:15]
	s_trap 2
.LBB8_150:                              ;   in Loop: Header=BB8_62 Depth=1
	s_or_b32 exec_lo, exec_lo, s19
	s_trap 2
	ds_load_b64 v[14:15], v0
	s_wait_dscnt 0x0
	v_add_nc_u64_e32 v[52:53], v[52:53], v[80:81]
	s_mov_b32 s19, exec_lo
	s_delay_alu instid0(VALU_DEP_1)
	v_cmpx_lt_u64_e64 v[14:15], v[52:53]
	s_cbranch_execz .LBB8_159
; %bb.151:                              ;   in Loop: Header=BB8_62 Depth=1
	s_mov_b32 s20, 0
	s_mov_b32 s23, 0
                                        ; implicit-def: $sgpr21
                                        ; implicit-def: $sgpr22
	s_branch .LBB8_153
.LBB8_152:                              ;   in Loop: Header=BB8_153 Depth=2
	s_or_b32 exec_lo, exec_lo, s25
	s_delay_alu instid0(SALU_CYCLE_1) | instskip(NEXT) | instid1(SALU_CYCLE_1)
	s_and_b32 s24, exec_lo, s26
	s_or_b32 s20, s24, s20
	s_and_not1_b32 s21, s21, exec_lo
	s_and_b32 s24, s22, exec_lo
	s_delay_alu instid0(SALU_CYCLE_1)
	s_or_b32 s21, s21, s24
	s_and_not1_b32 exec_lo, exec_lo, s20
	s_cbranch_execz .LBB8_157
.LBB8_153:                              ;   Parent Loop BB8_62 Depth=1
                                        ; =>  This Inner Loop Header: Depth=2
	s_add_co_i32 s23, s23, 1
	s_delay_alu instid0(SALU_CYCLE_1) | instskip(SKIP_1) | instid1(SALU_CYCLE_1)
	s_cmp_lg_u32 s23, 0x2710
	s_cselect_b32 s24, -1, 0
	s_and_b32 vcc_lo, exec_lo, s24
	s_cbranch_vccz .LBB8_155
; %bb.154:                              ;   in Loop: Header=BB8_153 Depth=2
	s_mov_b32 s26, -1
	s_or_b32 s22, s22, exec_lo
	s_and_saveexec_b32 s25, s24
	s_cbranch_execz .LBB8_152
	s_branch .LBB8_156
.LBB8_155:                              ;   in Loop: Header=BB8_153 Depth=2
	s_trap 2
	ds_load_b64 v[14:15], v0
	s_and_not1_b32 s24, s24, exec_lo
	s_mov_b32 s23, 0
	s_wait_loadcnt_dscnt 0x0
	flat_load_b32 v13, v[14:15] scope:SCOPE_SYS
	s_wait_loadcnt_dscnt 0x0
	global_inv scope:SCOPE_SYS
	v_cmp_eq_u32_e32 vcc_lo, 0, v13
	s_and_b32 s25, vcc_lo, exec_lo
	s_delay_alu instid0(SALU_CYCLE_1)
	s_or_b32 s24, s24, s25
	s_mov_b32 s26, -1
	s_or_b32 s22, s22, exec_lo
	s_and_saveexec_b32 s25, s24
	s_cbranch_execz .LBB8_152
.LBB8_156:                              ;   in Loop: Header=BB8_153 Depth=2
	s_sleep 1
	s_trap 2
	ds_load_b64 v[14:15], v0
	s_wait_dscnt 0x0
	s_and_not1_b32 s22, s22, exec_lo
	v_cmp_ge_u64_e32 vcc_lo, v[14:15], v[52:53]
	s_or_not1_b32 s26, vcc_lo, exec_lo
	s_branch .LBB8_152
.LBB8_157:                              ;   in Loop: Header=BB8_62 Depth=1
	s_or_b32 exec_lo, exec_lo, s20
	s_and_saveexec_b32 s20, s21
	s_delay_alu instid0(SALU_CYCLE_1)
	s_xor_b32 s20, exec_lo, s20
	s_cbranch_execz .LBB8_159
; %bb.158:                              ;   in Loop: Header=BB8_62 Depth=1
	ds_store_b32 v0, v1
	s_trap 2
.LBB8_159:                              ;   in Loop: Header=BB8_62 Depth=1
	s_or_b32 exec_lo, exec_lo, s19
	;;#ASMSTART
	s_wakeup
	;;#ASMEND
.LBB8_160:                              ;   in Loop: Header=BB8_62 Depth=1
	s_or_b32 exec_lo, exec_lo, s18
.LBB8_161:                              ;   in Loop: Header=BB8_62 Depth=1
	s_and_not1_saveexec_b32 s17, s17
	s_cbranch_execz .LBB8_163
; %bb.162:                              ;   in Loop: Header=BB8_62 Depth=1
	global_wb scope:SCOPE_DEV
	s_wait_storecnt 0x0
	s_wait_loadcnt_dscnt 0x0
	global_inv scope:SCOPE_DEV
	s_barrier_signal -1
	s_barrier_wait -1
.LBB8_163:                              ;   in Loop: Header=BB8_62 Depth=1
	s_or_b32 exec_lo, exec_lo, s17
.LBB8_164:                              ;   in Loop: Header=BB8_62 Depth=1
	s_delay_alu instid0(SALU_CYCLE_1) | instskip(SKIP_3) | instid1(VALU_DEP_2)
	s_or_b32 exec_lo, exec_lo, s7
	v_dual_mov_b32 v114, v0 :: v_dual_sub_nc_u32 v115, v58, v66
	v_dual_add_nc_u32 v15, 1, v102 :: v_dual_bitop2_b32 v13, 7, v102 bitop3:0x40
	s_mov_b32 s7, exec_lo
	v_cmpx_lt_i32_e32 0, v115
	s_cbranch_execz .LBB8_172
; %bb.165:                              ;   in Loop: Header=BB8_62 Depth=1
	s_delay_alu instid0(VALU_DEP_2) | instskip(SKIP_3) | instid1(VALU_DEP_3)
	v_mul_lo_u32 v16, v13, s13
	v_mov_b64_e32 v[116:117], v[82:83]
	v_mov_b32_e32 v114, v0
	s_mov_b32 s17, 0
	v_dual_mov_b32 v42, v45 :: v_dual_ashrrev_i32 v17, 31, v16
	s_delay_alu instid0(VALU_DEP_1)
	v_lshl_add_u64 v[118:119], v[16:17], 4, v[96:97]
	s_branch .LBB8_167
.LBB8_166:                              ;   in Loop: Header=BB8_167 Depth=2
	s_wait_xcnt 0x0
	s_or_b32 exec_lo, exec_lo, s18
	s_wait_loadcnt 0x0
	v_alignbit_b32 v14, v57, v14, v42
	v_alignbit_b32 v16, v43, v57, v42
	v_dual_mov_b32 v17, v15 :: v_dual_add_nc_u32 v114, v114, v18
	v_dual_sub_nc_u32 v115, v115, v84 :: v_dual_add_nc_u32 v42, v42, v47
	v_add_nc_u64_e32 v[116:117], v[116:117], v[84:85]
	global_store_b128 v[118:119], v[14:17], off
	s_wait_xcnt 0x0
	v_add_nc_u64_e32 v[118:119], v[118:119], v[98:99]
	v_cmp_gt_i32_e32 vcc_lo, 1, v115
	s_or_b32 s17, vcc_lo, s17
	s_delay_alu instid0(SALU_CYCLE_1)
	s_and_not1_b32 exec_lo, exec_lo, s17
	s_cbranch_execz .LBB8_171
.LBB8_167:                              ;   Parent Loop BB8_62 Depth=1
                                        ; =>  This Inner Loop Header: Depth=2
	s_delay_alu instid0(VALU_DEP_4)
	v_dual_mov_b32 v17, v117 :: v_dual_bitop2_b32 v16, -4, v116 bitop3:0x40
	v_min_u32_e32 v40, 8, v115
	v_dual_mov_b32 v43, 0 :: v_dual_bitop2_b32 v41, 3, v116 bitop3:0x40
	v_mov_b32_e32 v57, 0
	global_load_b32 v14, v[16:17], off th:TH_LOAD_NT
	s_mov_b32 s18, exec_lo
	v_add_nc_u32_e32 v40, v41, v40
	s_wait_xcnt 0x0
	s_delay_alu instid0(VALU_DEP_1)
	v_cmpx_lt_u32_e32 4, v40
	s_cbranch_execz .LBB8_169
; %bb.168:                              ;   in Loop: Header=BB8_167 Depth=2
	global_load_b32 v57, v[16:17], off offset:4 th:TH_LOAD_NT
.LBB8_169:                              ;   in Loop: Header=BB8_167 Depth=2
	s_wait_xcnt 0x0
	s_or_b32 exec_lo, exec_lo, s18
	v_mov_b32_e32 v41, v12
	s_mov_b32 s18, exec_lo
	s_delay_alu instid0(VALU_DEP_1)
	v_cmpx_lt_u64_e32 8, v[40:41]
	s_cbranch_execz .LBB8_166
; %bb.170:                              ;   in Loop: Header=BB8_167 Depth=2
	global_load_b32 v43, v[16:17], off offset:8 th:TH_LOAD_NT
	s_branch .LBB8_166
.LBB8_171:                              ;   in Loop: Header=BB8_62 Depth=1
	s_or_b32 exec_lo, exec_lo, s17
.LBB8_172:                              ;   in Loop: Header=BB8_62 Depth=1
	s_delay_alu instid0(SALU_CYCLE_1) | instskip(SKIP_3) | instid1(VALU_DEP_2)
	s_or_b32 exec_lo, exec_lo, s7
	v_and_b32_e32 v16, 0x7ffffff8, v102
	v_mov_b32_e32 v17, v12
	v_cmp_gt_i32_e64 s7, s13, v114
	v_cmp_eq_u64_e32 vcc_lo, 0x7ffffff8, v[16:17]
	s_and_b32 s17, vcc_lo, s7
	s_delay_alu instid0(SALU_CYCLE_1)
	s_and_saveexec_b32 s7, s17
	s_cbranch_execz .LBB8_175
; %bb.173:                              ;   in Loop: Header=BB8_62 Depth=1
	v_mul_lo_u32 v16, v13, s13
	v_mov_b32_e32 v13, v15
	s_mov_b32 s17, 0
	s_delay_alu instid0(VALU_DEP_2) | instskip(NEXT) | instid1(VALU_DEP_1)
	v_dual_ashrrev_i32 v115, 31, v114 :: v_dual_ashrrev_i32 v17, 31, v16
	v_lshlrev_b64_e32 v[16:17], 4, v[16:17]
	s_delay_alu instid0(VALU_DEP_1) | instskip(NEXT) | instid1(VALU_DEP_1)
	v_lshl_add_u64 v[16:17], v[114:115], 4, v[16:17]
	v_add_nc_u64_e32 v[16:17], v[36:37], v[16:17]
.LBB8_174:                              ;   Parent Loop BB8_62 Depth=1
                                        ; =>  This Inner Loop Header: Depth=2
	v_dual_mov_b32 v14, v12 :: v_dual_add_nc_u32 v114, v114, v18
	v_mov_b32_e32 v15, v13
	s_delay_alu instid0(VALU_DEP_2) | instskip(SKIP_4) | instid1(SALU_CYCLE_1)
	v_cmp_le_i32_e32 vcc_lo, s13, v114
	global_store_b128 v[16:17], v[12:15], off
	s_wait_xcnt 0x0
	v_add_nc_u64_e32 v[16:17], v[16:17], v[98:99]
	s_or_b32 s17, vcc_lo, s17
	s_and_not1_b32 exec_lo, exec_lo, s17
	s_cbranch_execnz .LBB8_174
.LBB8_175:                              ;   in Loop: Header=BB8_62 Depth=1
	s_or_b32 exec_lo, exec_lo, s7
.LBB8_176:                              ;   in Loop: Header=BB8_62 Depth=1
	s_delay_alu instid0(SALU_CYCLE_1)
	s_or_b32 exec_lo, exec_lo, s8
	v_sub_nc_u32_e32 v57, v58, v66
	s_and_not1_b32 vcc_lo, exec_lo, s15
	s_mov_b32 s7, -1
                                        ; implicit-def: $vgpr13
	s_cbranch_vccnz .LBB8_178
; %bb.177:                              ;   in Loop: Header=BB8_62 Depth=1
	v_sub_nc_u32_e32 v13, v58, v66
	s_mov_b32 s7, 0
.LBB8_178:                              ;   in Loop: Header=BB8_62 Depth=1
	v_add_nc_u64_e32 v[114:115], 1, v[102:103]
	s_and_not1_b32 vcc_lo, exec_lo, s7
	s_cbranch_vccnz .LBB8_275
; %bb.179:                              ;   in Loop: Header=BB8_62 Depth=1
	v_add_nc_u64_e32 v[14:15], v[8:9], v[66:67]
	v_cmp_lt_i32_e64 s7, 0, v57
	v_add_nc_u16 v58, v102, 1
	s_mov_b32 s17, 1
	v_add_nc_u64_e32 v[112:113], v[14:15], v[112:113]
.LBB8_180:                              ;   Parent Loop BB8_62 Depth=1
                                        ; =>  This Loop Header: Depth=2
                                        ;       Child Loop BB8_185 Depth 3
                                        ;       Child Loop BB8_204 Depth 3
	;; [unrolled: 1-line block ×3, first 2 shown]
                                        ;         Child Loop BB8_230 Depth 4
                                        ;       Child Loop BB8_264 Depth 3
                                        ;       Child Loop BB8_221 Depth 3
	s_sub_co_i32 s8, s10, s17
	v_readfirstlane_b32 s18, v22
	v_mov_b32_e32 v13, s8
	v_readfirstlane_b32 s19, v23
	s_wait_loadcnt_dscnt 0x0
	flat_load_b32 v16, v13, s[18:19] scale_offset
	s_wait_xcnt 0x0
	s_and_saveexec_b32 s18, s1
	s_cbranch_execz .LBB8_196
; %bb.181:                              ;   in Loop: Header=BB8_180 Depth=2
	v_add_nc_u64_e32 v[14:15], 1, v[4:5]
	s_wait_loadcnt_dscnt 0x101
	v_add_nc_u64_e32 v[102:103], 8, v[64:65]
	s_mov_b32 s19, exec_lo
	s_delay_alu instid0(VALU_DEP_1)
	v_cmpx_lt_u64_e64 v[102:103], v[14:15]
	s_cbranch_execz .LBB8_193
; %bb.182:                              ;   in Loop: Header=BB8_180 Depth=2
	s_mov_b32 s20, 0
	s_mov_b32 s24, 0
	v_cmp_eq_u32_e32 vcc_lo, 0, v19
                                        ; implicit-def: $sgpr21
                                        ; implicit-def: $sgpr22
                                        ; implicit-def: $sgpr23
	s_branch .LBB8_185
.LBB8_183:                              ;   in Loop: Header=BB8_185 Depth=3
	s_or_b32 exec_lo, exec_lo, s29
	v_mov_b32_e32 v13, 0
	s_and_not1_b32 s8, s23, exec_lo
	s_and_b32 s23, s27, exec_lo
	s_and_not1_b32 s22, s22, exec_lo
	s_and_b32 s26, s26, exec_lo
	s_or_b32 s23, s8, s23
	s_or_b32 s22, s22, s26
.LBB8_184:                              ;   in Loop: Header=BB8_185 Depth=3
	s_or_b32 exec_lo, exec_lo, s25
	s_delay_alu instid0(SALU_CYCLE_1) | instskip(NEXT) | instid1(SALU_CYCLE_1)
	s_and_b32 s8, exec_lo, s22
	s_or_b32 s20, s8, s20
	s_and_not1_b32 s8, s21, exec_lo
	s_and_b32 s21, s23, exec_lo
	s_delay_alu instid0(SALU_CYCLE_1)
	s_or_b32 s21, s8, s21
	s_and_not1_b32 exec_lo, exec_lo, s20
	s_cbranch_execz .LBB8_190
.LBB8_185:                              ;   Parent Loop BB8_62 Depth=1
                                        ;     Parent Loop BB8_180 Depth=2
                                        ; =>    This Inner Loop Header: Depth=3
	s_sleep 1
	s_wait_loadcnt_dscnt 0x0
	flat_load_b64 v[64:65], v[50:51] scope:SCOPE_DEV
	v_mov_b32_e32 v13, v19
	s_or_b32 s23, s23, exec_lo
	s_or_b32 s22, s22, exec_lo
                                        ; implicit-def: $vgpr5
	s_wait_xcnt 0x0
	s_and_saveexec_b32 s25, vcc_lo
	s_cbranch_execz .LBB8_184
; %bb.186:                              ;   in Loop: Header=BB8_185 Depth=3
	s_add_co_i32 s24, s24, 1
	s_mov_b32 s26, -1
	s_cmp_lg_u32 s24, 0x2710
	s_mov_b32 s27, -1
	s_cselect_b32 s28, -1, 0
	s_cmp_eq_u32 s24, 0x2710
                                        ; implicit-def: $vgpr5
	s_cbranch_scc1 .LBB8_188
; %bb.187:                              ;   in Loop: Header=BB8_185 Depth=3
	s_and_saveexec_b32 s29, s28
	s_cbranch_execz .LBB8_183
	s_branch .LBB8_189
.LBB8_188:                              ;   in Loop: Header=BB8_185 Depth=3
	s_trap 2
	ds_load_b64 v[102:103], v0
	s_and_not1_b32 s24, s28, exec_lo
	s_mov_b32 s27, 0
	s_wait_storecnt 0x0
	s_wait_loadcnt_dscnt 0x0
	flat_load_b32 v5, v[102:103] scope:SCOPE_SYS
	s_wait_loadcnt_dscnt 0x0
	global_inv scope:SCOPE_SYS
	v_cmp_eq_u32_e64 s8, 0, v5
	s_and_b32 s8, s8, exec_lo
	s_delay_alu instid0(SALU_CYCLE_1)
	s_or_b32 s28, s24, s8
	s_mov_b32 s24, 0
	s_and_saveexec_b32 s29, s28
	s_cbranch_execz .LBB8_183
.LBB8_189:                              ;   in Loop: Header=BB8_185 Depth=3
	s_wait_loadcnt_dscnt 0x0
	v_add_nc_u64_e32 v[102:103], 8, v[64:65]
	s_or_b32 s27, s27, exec_lo
	s_delay_alu instid0(VALU_DEP_1)
	v_cmp_ge_u64_e64 s8, v[102:103], v[14:15]
	s_or_not1_b32 s26, s8, exec_lo
	s_branch .LBB8_183
.LBB8_190:                              ;   in Loop: Header=BB8_180 Depth=2
	s_or_b32 exec_lo, exec_lo, s20
	s_xor_b32 s8, s21, -1
	s_delay_alu instid0(SALU_CYCLE_1) | instskip(NEXT) | instid1(SALU_CYCLE_1)
	s_and_saveexec_b32 s20, s8
	s_xor_b32 s8, exec_lo, s20
	s_cbranch_execz .LBB8_192
; %bb.191:                              ;   in Loop: Header=BB8_180 Depth=2
	v_mov_b32_e32 v13, 1
	s_wait_storecnt 0x0
	s_wait_loadcnt_dscnt 0x0
	ds_store_b32 v0, v5
	s_trap 2
.LBB8_192:                              ;   in Loop: Header=BB8_180 Depth=2
	s_or_b32 exec_lo, exec_lo, s8
	v_mov_b32_e32 v19, v13
.LBB8_193:                              ;   in Loop: Header=BB8_180 Depth=2
	s_or_b32 exec_lo, exec_lo, s19
	s_and_saveexec_b32 s8, s2
	s_cbranch_execz .LBB8_195
; %bb.194:                              ;   in Loop: Header=BB8_180 Depth=2
	v_and_b32_e32 v102, 0x7ffffff8, v4
	v_dual_mov_b32 v103, v12 :: v_dual_bitop2_b32 v4, 7, v4 bitop3:0x40
	s_delay_alu instid0(VALU_DEP_1) | instskip(NEXT) | instid1(VALU_DEP_2)
	v_cmp_eq_u64_e32 vcc_lo, 0x7ffffff8, v[102:103]
	v_mad_nc_u64_u32 v[4:5], v4, 24, v[2:3]
	v_cndmask_b32_e64 v13, v56, s13, vcc_lo
	s_delay_alu instid0(VALU_DEP_1) | instskip(NEXT) | instid1(VALU_DEP_1)
	v_lshlrev_b32_e32 v102, 4, v13
	v_ashrrev_i32_e32 v103, 31, v102
	flat_store_b64 v[4:5], v[102:103] offset:8 scope:SCOPE_SYS
	s_wait_storecnt 0x0
.LBB8_195:                              ;   in Loop: Header=BB8_180 Depth=2
	s_wait_xcnt 0x0
	s_or_b32 exec_lo, exec_lo, s8
	v_mov_b64_e32 v[4:5], v[14:15]
.LBB8_196:                              ;   in Loop: Header=BB8_180 Depth=2
	s_or_b32 exec_lo, exec_lo, s18
	s_and_saveexec_b32 s8, s3
	s_cbranch_execz .LBB8_215
; %bb.197:                              ;   in Loop: Header=BB8_180 Depth=2
	s_and_saveexec_b32 s18, s4
	s_delay_alu instid0(SALU_CYCLE_1)
	s_xor_b32 s18, exec_lo, s18
	s_cbranch_execz .LBB8_212
; %bb.198:                              ;   in Loop: Header=BB8_180 Depth=2
	s_and_saveexec_b32 s19, s5
	s_cbranch_execz .LBB8_211
; %bb.199:                              ;   in Loop: Header=BB8_180 Depth=2
	s_mov_b32 s21, exec_lo
	s_mov_b32 s20, exec_lo
	v_mbcnt_lo_u32_b32 v13, s21, 0
	global_wb scope:SCOPE_DEV
	s_wait_storecnt 0x0
	s_wait_loadcnt_dscnt 0x0
	global_inv scope:SCOPE_DEV
	v_cmpx_eq_u32_e32 0, v13
	s_cbranch_execz .LBB8_201
; %bb.200:                              ;   in Loop: Header=BB8_180 Depth=2
	s_bcnt1_i32_b32 s21, s21
	s_delay_alu instid0(SALU_CYCLE_1)
	v_dual_mov_b32 v15, v12 :: v_dual_mov_b32 v14, s21
	s_wait_loadcnt 0x0
	ds_add_u64 v0, v[14:15]
	s_trap 2
.LBB8_201:                              ;   in Loop: Header=BB8_180 Depth=2
	s_or_b32 exec_lo, exec_lo, s20
	s_trap 2
	ds_load_b64 v[14:15], v0
	s_wait_dscnt 0x0
	v_add_nc_u64_e32 v[52:53], v[52:53], v[80:81]
	s_mov_b32 s20, exec_lo
	s_delay_alu instid0(VALU_DEP_1)
	v_cmpx_lt_u64_e64 v[14:15], v[52:53]
	s_cbranch_execz .LBB8_210
; %bb.202:                              ;   in Loop: Header=BB8_180 Depth=2
	s_mov_b32 s21, 0
	s_mov_b32 s24, 0
                                        ; implicit-def: $sgpr22
                                        ; implicit-def: $sgpr23
	s_branch .LBB8_204
.LBB8_203:                              ;   in Loop: Header=BB8_204 Depth=3
	s_or_b32 exec_lo, exec_lo, s26
	s_delay_alu instid0(SALU_CYCLE_1) | instskip(NEXT) | instid1(SALU_CYCLE_1)
	s_and_b32 s25, exec_lo, s27
	s_or_b32 s21, s25, s21
	s_and_not1_b32 s22, s22, exec_lo
	s_and_b32 s25, s23, exec_lo
	s_delay_alu instid0(SALU_CYCLE_1)
	s_or_b32 s22, s22, s25
	s_and_not1_b32 exec_lo, exec_lo, s21
	s_cbranch_execz .LBB8_208
.LBB8_204:                              ;   Parent Loop BB8_62 Depth=1
                                        ;     Parent Loop BB8_180 Depth=2
                                        ; =>    This Inner Loop Header: Depth=3
	s_add_co_i32 s24, s24, 1
	s_delay_alu instid0(SALU_CYCLE_1) | instskip(SKIP_1) | instid1(SALU_CYCLE_1)
	s_cmp_lg_u32 s24, 0x2710
	s_cselect_b32 s25, -1, 0
	s_and_b32 vcc_lo, exec_lo, s25
	s_cbranch_vccz .LBB8_206
; %bb.205:                              ;   in Loop: Header=BB8_204 Depth=3
	s_mov_b32 s27, -1
	s_or_b32 s23, s23, exec_lo
	s_and_saveexec_b32 s26, s25
	s_cbranch_execz .LBB8_203
	s_branch .LBB8_207
.LBB8_206:                              ;   in Loop: Header=BB8_204 Depth=3
	s_trap 2
	ds_load_b64 v[14:15], v0
	s_and_not1_b32 s25, s25, exec_lo
	s_mov_b32 s24, 0
	s_wait_loadcnt_dscnt 0x0
	flat_load_b32 v13, v[14:15] scope:SCOPE_SYS
	s_wait_loadcnt_dscnt 0x0
	global_inv scope:SCOPE_SYS
	v_cmp_eq_u32_e32 vcc_lo, 0, v13
	s_and_b32 s26, vcc_lo, exec_lo
	s_delay_alu instid0(SALU_CYCLE_1)
	s_or_b32 s25, s25, s26
	s_mov_b32 s27, -1
	s_or_b32 s23, s23, exec_lo
	s_and_saveexec_b32 s26, s25
	s_cbranch_execz .LBB8_203
.LBB8_207:                              ;   in Loop: Header=BB8_204 Depth=3
	s_sleep 1
	s_trap 2
	ds_load_b64 v[14:15], v0
	s_wait_dscnt 0x0
	s_and_not1_b32 s23, s23, exec_lo
	v_cmp_ge_u64_e32 vcc_lo, v[14:15], v[52:53]
	s_or_not1_b32 s27, vcc_lo, exec_lo
	s_branch .LBB8_203
.LBB8_208:                              ;   in Loop: Header=BB8_180 Depth=2
	s_or_b32 exec_lo, exec_lo, s21
	s_and_saveexec_b32 s21, s22
	s_delay_alu instid0(SALU_CYCLE_1)
	s_xor_b32 s21, exec_lo, s21
	s_cbranch_execz .LBB8_210
; %bb.209:                              ;   in Loop: Header=BB8_180 Depth=2
	ds_store_b32 v0, v1
	s_trap 2
.LBB8_210:                              ;   in Loop: Header=BB8_180 Depth=2
	s_or_b32 exec_lo, exec_lo, s20
	;;#ASMSTART
	s_wakeup
	;;#ASMEND
.LBB8_211:                              ;   in Loop: Header=BB8_180 Depth=2
	s_or_b32 exec_lo, exec_lo, s19
.LBB8_212:                              ;   in Loop: Header=BB8_180 Depth=2
	s_and_not1_saveexec_b32 s18, s18
	s_cbranch_execz .LBB8_214
; %bb.213:                              ;   in Loop: Header=BB8_180 Depth=2
	global_wb scope:SCOPE_DEV
	s_wait_storecnt 0x0
	s_wait_loadcnt_dscnt 0x0
	global_inv scope:SCOPE_DEV
	s_barrier_signal -1
	s_barrier_wait -1
.LBB8_214:                              ;   in Loop: Header=BB8_180 Depth=2
	s_or_b32 exec_lo, exec_lo, s18
.LBB8_215:                              ;   in Loop: Header=BB8_180 Depth=2
	s_delay_alu instid0(SALU_CYCLE_1)
	s_or_b32 exec_lo, exec_lo, s8
	v_dual_mov_b32 v102, v0 :: v_dual_add_nc_u32 v13, 1, v114
	s_and_saveexec_b32 s18, s7
	s_cbranch_execnz .LBB8_224
; %bb.216:                              ;   in Loop: Header=BB8_180 Depth=2
	s_or_b32 exec_lo, exec_lo, s18
	s_and_saveexec_b32 s8, s3
	s_cbranch_execnz .LBB8_257
.LBB8_217:                              ;   in Loop: Header=BB8_180 Depth=2
	s_or_b32 exec_lo, exec_lo, s8
	s_and_saveexec_b32 s8, s6
	s_cbranch_execz .LBB8_219
.LBB8_218:                              ;   in Loop: Header=BB8_180 Depth=2
	v_add_nc_u64_e32 v[38:39], 1, v[38:39]
	global_wb scope:SCOPE_SYS
	s_wait_storecnt 0x0
	s_wait_loadcnt_dscnt 0x0
	flat_store_b64 v[48:49], v[38:39] scope:SCOPE_SYS
.LBB8_219:                              ;   in Loop: Header=BB8_180 Depth=2
	s_wait_xcnt 0x0
	s_or_b32 exec_lo, exec_lo, s8
	v_and_b32_e32 v14, 0x7ffffff8, v114
	v_mov_b32_e32 v15, v12
	v_cmp_gt_i32_e64 s8, s13, v102
	s_delay_alu instid0(VALU_DEP_2) | instskip(SKIP_1) | instid1(SALU_CYCLE_1)
	v_cmp_eq_u64_e32 vcc_lo, 0x7ffffff8, v[14:15]
	s_and_b32 s18, vcc_lo, s8
	s_and_saveexec_b32 s8, s18
	s_cbranch_execz .LBB8_222
; %bb.220:                              ;   in Loop: Header=BB8_180 Depth=2
	v_and_b32_e32 v14, 7, v58
	v_ashrrev_i32_e32 v103, 31, v102
	s_mov_b32 s18, 0
	s_delay_alu instid0(VALU_DEP_2) | instskip(NEXT) | instid1(VALU_DEP_1)
	v_mul_lo_u32 v14, s13, v14
	v_ashrrev_i32_e32 v15, 31, v14
	s_delay_alu instid0(VALU_DEP_1) | instskip(NEXT) | instid1(VALU_DEP_1)
	v_lshlrev_b64_e32 v[14:15], 4, v[14:15]
	v_lshl_add_u64 v[14:15], v[102:103], 4, v[14:15]
	s_wait_loadcnt_dscnt 0x0
	s_delay_alu instid0(VALU_DEP_1)
	v_add_nc_u64_e32 v[16:17], v[36:37], v[14:15]
.LBB8_221:                              ;   Parent Loop BB8_62 Depth=1
                                        ;     Parent Loop BB8_180 Depth=2
                                        ; =>    This Inner Loop Header: Depth=3
	v_dual_mov_b32 v14, v12 :: v_dual_add_nc_u32 v102, v102, v18
	v_mov_b32_e32 v15, v13
	s_delay_alu instid0(VALU_DEP_2) | instskip(SKIP_4) | instid1(SALU_CYCLE_1)
	v_cmp_le_i32_e32 vcc_lo, s13, v102
	global_store_b128 v[16:17], v[12:15], off
	s_wait_xcnt 0x0
	v_add_nc_u64_e32 v[16:17], v[16:17], v[98:99]
	s_or_b32 s18, vcc_lo, s18
	s_and_not1_b32 exec_lo, exec_lo, s18
	s_cbranch_execnz .LBB8_221
.LBB8_222:                              ;   in Loop: Header=BB8_180 Depth=2
	s_or_b32 exec_lo, exec_lo, s8
	v_add_nc_u64_e32 v[34:35], 1, v[34:35]
	v_add_nc_u64_e32 v[114:115], 1, v[114:115]
	v_add_nc_u16 v58, v58, 1
	s_add_co_i32 s8, s17, 1
	s_cmp_eq_u32 s17, s16
	s_cbranch_scc1 .LBB8_276
; %bb.223:                              ;   in Loop: Header=BB8_180 Depth=2
	s_mov_b32 s17, s8
	s_branch .LBB8_180
.LBB8_224:                              ;   in Loop: Header=BB8_180 Depth=2
	s_wait_loadcnt_dscnt 0x0
	v_mad_nc_u64_u32 v[116:117], v24, v16, v[112:113]
	v_and_b32_e32 v14, 7, v34
	v_dual_mov_b32 v60, v57 :: v_dual_bitop2_b32 v15, 7, v114 bitop3:0x40
	v_add_nc_u32_e32 v59, 1, v34
	s_mov_b32 s19, 0
	s_delay_alu instid0(VALU_DEP_2) | instskip(SKIP_3) | instid1(VALU_DEP_4)
	v_mul_lo_u32 v102, v15, s13
	v_mad_u32 v17, v25, v16, v117
	v_ashrrev_i32_e32 v16, 31, v16
	v_mul_lo_u32 v14, v14, s13
	v_ashrrev_i32_e32 v103, 31, v102
	s_delay_alu instid0(VALU_DEP_3) | instskip(NEXT) | instid1(VALU_DEP_2)
	v_mad_u32 v117, v24, v16, v17
	v_lshl_add_u64 v[40:41], v[102:103], 4, v[36:37]
	s_delay_alu instid0(VALU_DEP_4) | instskip(NEXT) | instid1(VALU_DEP_1)
	v_dual_mov_b32 v102, v0 :: v_dual_ashrrev_i32 v15, 31, v14
	v_lshl_add_u64 v[118:119], v[14:15], 4, v[32:33]
	s_branch .LBB8_226
.LBB8_225:                              ;   in Loop: Header=BB8_226 Depth=3
	v_dual_sub_nc_u32 v60, v60, v84 :: v_dual_add_nc_u32 v102, v102, v18
	s_wait_xcnt 0x0
	v_add_nc_u64_e32 v[116:117], v[116:117], v[84:85]
	s_delay_alu instid0(VALU_DEP_2) | instskip(SKIP_1) | instid1(SALU_CYCLE_1)
	v_cmp_gt_i32_e32 vcc_lo, 1, v60
	s_or_b32 s19, vcc_lo, s19
	s_and_not1_b32 exec_lo, exec_lo, s19
	s_cbranch_execz .LBB8_256
.LBB8_226:                              ;   Parent Loop BB8_62 Depth=1
                                        ;     Parent Loop BB8_180 Depth=2
                                        ; =>    This Loop Header: Depth=3
                                        ;         Child Loop BB8_230 Depth 4
	s_delay_alu instid0(VALU_DEP_2) | instskip(SKIP_1) | instid1(VALU_DEP_1)
	v_ashrrev_i32_e32 v103, 31, v102
	s_mov_b32 s20, exec_lo
	v_lshl_add_u64 v[42:43], v[102:103], 4, v[118:119]
	global_load_b128 v[14:17], v[42:43], off th:TH_LOAD_NT
	s_wait_xcnt 0x0
	v_cmpx_eq_u32_e32 0, v19
	s_cbranch_execz .LBB8_238
; %bb.227:                              ;   in Loop: Header=BB8_226 Depth=3
	s_wait_loadcnt 0x0
	v_cmp_ne_u32_e32 vcc_lo, v59, v15
	v_cmp_ne_u32_e64 s8, v59, v17
	v_mov_b32_e32 v19, 0
	s_or_b32 s8, vcc_lo, s8
	s_delay_alu instid0(SALU_CYCLE_1)
	s_and_saveexec_b32 s21, s8
	s_cbranch_execz .LBB8_237
; %bb.228:                              ;   in Loop: Header=BB8_226 Depth=3
	s_mov_b32 s25, 1
	s_mov_b32 s23, 0
                                        ; implicit-def: $sgpr22
                                        ; implicit-def: $sgpr24
	s_branch .LBB8_230
.LBB8_229:                              ;   in Loop: Header=BB8_230 Depth=4
	s_or_b32 exec_lo, exec_lo, s27
	s_delay_alu instid0(SALU_CYCLE_1) | instskip(NEXT) | instid1(SALU_CYCLE_1)
	s_and_b32 s8, exec_lo, s8
	s_or_b32 s23, s8, s23
	s_and_not1_b32 s8, s22, exec_lo
	s_and_b32 s22, s24, exec_lo
	s_delay_alu instid0(SALU_CYCLE_1)
	s_or_b32 s22, s8, s22
	s_and_not1_b32 exec_lo, exec_lo, s23
	s_cbranch_execz .LBB8_234
.LBB8_230:                              ;   Parent Loop BB8_62 Depth=1
                                        ;     Parent Loop BB8_180 Depth=2
                                        ;       Parent Loop BB8_226 Depth=3
                                        ; =>      This Inner Loop Header: Depth=4
	s_wait_loadcnt 0x0
	global_load_b128 v[14:17], v[42:43], off th:TH_LOAD_NT
	s_add_co_i32 s25, s25, 1
	s_mov_b32 s8, -1
	s_cmp_lg_u32 s25, 0x2710
	s_mov_b32 s26, -1
                                        ; implicit-def: $vgpr61
	s_cbranch_scc0 .LBB8_232
; %bb.231:                              ;   in Loop: Header=BB8_230 Depth=4
	s_or_b32 s24, s24, exec_lo
	s_wait_xcnt 0x0
	s_and_saveexec_b32 s27, s26
	s_cbranch_execz .LBB8_229
	s_branch .LBB8_233
.LBB8_232:                              ;   in Loop: Header=BB8_230 Depth=4
	s_trap 2
	ds_load_b64 v[62:63], v0
	s_mov_b32 s25, 0
	s_wait_storecnt 0x0
	s_wait_loadcnt_dscnt 0x0
	flat_load_b32 v61, v[62:63] scope:SCOPE_SYS
	s_wait_loadcnt_dscnt 0x0
	global_inv scope:SCOPE_SYS
	v_cmp_eq_u32_e32 vcc_lo, 0, v61
	s_or_not1_b32 s26, vcc_lo, exec_lo
	s_or_b32 s24, s24, exec_lo
	s_wait_xcnt 0x0
	s_and_saveexec_b32 s27, s26
	s_cbranch_execz .LBB8_229
.LBB8_233:                              ;   in Loop: Header=BB8_230 Depth=4
	s_wait_loadcnt 0x0
	v_cmp_eq_u32_e32 vcc_lo, v59, v15
	v_cmp_eq_u32_e64 s8, v59, v17
	s_and_not1_b32 s24, s24, exec_lo
	s_and_b32 s8, vcc_lo, s8
	s_delay_alu instid0(SALU_CYCLE_1)
	s_or_not1_b32 s8, s8, exec_lo
	s_branch .LBB8_229
.LBB8_234:                              ;   in Loop: Header=BB8_226 Depth=3
	s_or_b32 exec_lo, exec_lo, s23
	v_mov_b32_e32 v19, 0
	s_and_saveexec_b32 s8, s22
	s_delay_alu instid0(SALU_CYCLE_1)
	s_xor_b32 s8, exec_lo, s8
	s_cbranch_execz .LBB8_236
; %bb.235:                              ;   in Loop: Header=BB8_226 Depth=3
	v_mov_b32_e32 v19, 1
	s_wait_loadcnt 0x0
	s_wait_storecnt 0x0
	ds_store_b32 v0, v61
	s_trap 2
.LBB8_236:                              ;   in Loop: Header=BB8_226 Depth=3
	s_or_b32 exec_lo, exec_lo, s8
.LBB8_237:                              ;   in Loop: Header=BB8_226 Depth=3
	s_delay_alu instid0(SALU_CYCLE_1)
	s_or_b32 exec_lo, exec_lo, s21
.LBB8_238:                              ;   in Loop: Header=BB8_226 Depth=3
	s_delay_alu instid0(SALU_CYCLE_1)
	s_or_b32 exec_lo, exec_lo, s20
	v_cmp_lt_u32_e32 vcc_lo, 7, v60
	v_lshl_add_u64 v[42:43], v[102:103], 4, v[40:41]
	s_wait_loadcnt 0x0
	v_dual_mov_b32 v15, v13 :: v_dual_mov_b32 v17, v13
	s_mov_b32 s8, -1
	s_cmp_lg_u32 vcc_lo, exec_lo
	global_store_b128 v[42:43], v[14:17], off
	s_cbranch_scc0 .LBB8_254
; %bb.239:                              ;   in Loop: Header=BB8_226 Depth=3
	s_mov_b32 s20, exec_lo
	flat_store_b8 v[116:117], v14
	s_wait_xcnt 0x0
	v_cmpx_ne_u32_e32 1, v60
	s_cbranch_execz .LBB8_241
; %bb.240:                              ;   in Loop: Header=BB8_226 Depth=3
	v_lshrrev_b32_e32 v15, 8, v14
	flat_store_b8 v[116:117], v15 offset:1
.LBB8_241:                              ;   in Loop: Header=BB8_226 Depth=3
	s_wait_xcnt 0x0
	s_or_b32 exec_lo, exec_lo, s20
	s_delay_alu instid0(SALU_CYCLE_1)
	s_mov_b32 s20, exec_lo
	v_cmpx_lt_u32_e32 2, v60
	s_cbranch_execz .LBB8_243
; %bb.242:                              ;   in Loop: Header=BB8_226 Depth=3
	flat_store_d16_hi_b8 v[116:117], v14 offset:2
.LBB8_243:                              ;   in Loop: Header=BB8_226 Depth=3
	s_wait_xcnt 0x0
	s_or_b32 exec_lo, exec_lo, s20
	s_delay_alu instid0(SALU_CYCLE_1)
	s_mov_b32 s20, exec_lo
	v_cmpx_lt_u32_e32 3, v60
	s_cbranch_execz .LBB8_245
; %bb.244:                              ;   in Loop: Header=BB8_226 Depth=3
	v_lshrrev_b32_e32 v15, 24, v14
	flat_store_b8 v[116:117], v15 offset:3
.LBB8_245:                              ;   in Loop: Header=BB8_226 Depth=3
	s_wait_xcnt 0x0
	s_or_b32 exec_lo, exec_lo, s20
	s_delay_alu instid0(SALU_CYCLE_1)
	s_mov_b32 s20, exec_lo
	v_cmpx_lt_u32_e32 4, v60
	s_cbranch_execz .LBB8_247
; %bb.246:                              ;   in Loop: Header=BB8_226 Depth=3
	flat_store_b8 v[116:117], v16 offset:4
.LBB8_247:                              ;   in Loop: Header=BB8_226 Depth=3
	s_wait_xcnt 0x0
	s_or_b32 exec_lo, exec_lo, s20
	s_delay_alu instid0(SALU_CYCLE_1)
	s_mov_b32 s20, exec_lo
	v_cmpx_lt_u32_e32 5, v60
	s_cbranch_execz .LBB8_249
; %bb.248:                              ;   in Loop: Header=BB8_226 Depth=3
	v_lshrrev_b32_e32 v15, 8, v16
	flat_store_b8 v[116:117], v15 offset:5
.LBB8_249:                              ;   in Loop: Header=BB8_226 Depth=3
	s_wait_xcnt 0x0
	s_or_b32 exec_lo, exec_lo, s20
	s_delay_alu instid0(SALU_CYCLE_1)
	s_mov_b32 s20, exec_lo
	v_cmpx_lt_u32_e32 6, v60
	s_cbranch_execz .LBB8_251
; %bb.250:                              ;   in Loop: Header=BB8_226 Depth=3
	flat_store_d16_hi_b8 v[116:117], v16 offset:6
.LBB8_251:                              ;   in Loop: Header=BB8_226 Depth=3
	s_wait_xcnt 0x0
	s_or_b32 exec_lo, exec_lo, s20
	s_and_saveexec_b32 s8, vcc_lo
	s_cbranch_execz .LBB8_253
; %bb.252:                              ;   in Loop: Header=BB8_226 Depth=3
	v_lshrrev_b32_e32 v15, 24, v16
	flat_store_b8 v[116:117], v15 offset:7
.LBB8_253:                              ;   in Loop: Header=BB8_226 Depth=3
	s_wait_xcnt 0x0
	s_or_b32 exec_lo, exec_lo, s8
	s_mov_b32 s8, 0
.LBB8_254:                              ;   in Loop: Header=BB8_226 Depth=3
	s_delay_alu instid0(SALU_CYCLE_1)
	s_and_b32 vcc_lo, exec_lo, s8
	s_cbranch_vccz .LBB8_225
; %bb.255:                              ;   in Loop: Header=BB8_226 Depth=3
	s_wait_xcnt 0x0
	v_mov_b32_e32 v15, v16
	global_store_b64 v[116:117], v[14:15], off
	s_branch .LBB8_225
.LBB8_256:                              ;   in Loop: Header=BB8_180 Depth=2
	s_or_b32 exec_lo, exec_lo, s19
	s_delay_alu instid0(SALU_CYCLE_1)
	s_or_b32 exec_lo, exec_lo, s18
	s_and_saveexec_b32 s8, s3
	s_cbranch_execz .LBB8_217
.LBB8_257:                              ;   in Loop: Header=BB8_180 Depth=2
	s_and_saveexec_b32 s18, s4
	s_delay_alu instid0(SALU_CYCLE_1)
	s_xor_b32 s18, exec_lo, s18
	s_cbranch_execz .LBB8_272
; %bb.258:                              ;   in Loop: Header=BB8_180 Depth=2
	s_and_saveexec_b32 s19, s5
	s_cbranch_execz .LBB8_271
; %bb.259:                              ;   in Loop: Header=BB8_180 Depth=2
	s_mov_b32 s21, exec_lo
	s_mov_b32 s20, exec_lo
	v_mbcnt_lo_u32_b32 v14, s21, 0
	global_wb scope:SCOPE_DEV
	s_wait_storecnt 0x0
	s_wait_loadcnt_dscnt 0x0
	global_inv scope:SCOPE_DEV
	v_cmpx_eq_u32_e32 0, v14
	s_cbranch_execz .LBB8_261
; %bb.260:                              ;   in Loop: Header=BB8_180 Depth=2
	s_bcnt1_i32_b32 s21, s21
	s_delay_alu instid0(SALU_CYCLE_1)
	v_dual_mov_b32 v15, v12 :: v_dual_mov_b32 v14, s21
	s_wait_loadcnt 0x0
	ds_add_u64 v0, v[14:15]
	s_trap 2
.LBB8_261:                              ;   in Loop: Header=BB8_180 Depth=2
	s_or_b32 exec_lo, exec_lo, s20
	s_trap 2
	ds_load_b64 v[14:15], v0
	s_wait_dscnt 0x0
	v_add_nc_u64_e32 v[52:53], v[52:53], v[80:81]
	s_mov_b32 s20, exec_lo
	s_delay_alu instid0(VALU_DEP_1)
	v_cmpx_lt_u64_e64 v[14:15], v[52:53]
	s_cbranch_execz .LBB8_270
; %bb.262:                              ;   in Loop: Header=BB8_180 Depth=2
	s_mov_b32 s21, 0
	s_mov_b32 s24, 0
                                        ; implicit-def: $sgpr22
                                        ; implicit-def: $sgpr23
	s_branch .LBB8_264
.LBB8_263:                              ;   in Loop: Header=BB8_264 Depth=3
	s_or_b32 exec_lo, exec_lo, s26
	s_delay_alu instid0(SALU_CYCLE_1) | instskip(NEXT) | instid1(SALU_CYCLE_1)
	s_and_b32 s25, exec_lo, s27
	s_or_b32 s21, s25, s21
	s_and_not1_b32 s22, s22, exec_lo
	s_and_b32 s25, s23, exec_lo
	s_delay_alu instid0(SALU_CYCLE_1)
	s_or_b32 s22, s22, s25
	s_and_not1_b32 exec_lo, exec_lo, s21
	s_cbranch_execz .LBB8_268
.LBB8_264:                              ;   Parent Loop BB8_62 Depth=1
                                        ;     Parent Loop BB8_180 Depth=2
                                        ; =>    This Inner Loop Header: Depth=3
	s_add_co_i32 s24, s24, 1
	s_delay_alu instid0(SALU_CYCLE_1) | instskip(SKIP_1) | instid1(SALU_CYCLE_1)
	s_cmp_lg_u32 s24, 0x2710
	s_cselect_b32 s25, -1, 0
	s_and_b32 vcc_lo, exec_lo, s25
	s_cbranch_vccz .LBB8_266
; %bb.265:                              ;   in Loop: Header=BB8_264 Depth=3
	s_mov_b32 s27, -1
	s_or_b32 s23, s23, exec_lo
	s_and_saveexec_b32 s26, s25
	s_cbranch_execz .LBB8_263
	s_branch .LBB8_267
.LBB8_266:                              ;   in Loop: Header=BB8_264 Depth=3
	s_trap 2
	ds_load_b64 v[14:15], v0
	s_and_not1_b32 s25, s25, exec_lo
	s_mov_b32 s24, 0
	s_wait_loadcnt_dscnt 0x0
	flat_load_b32 v14, v[14:15] scope:SCOPE_SYS
	s_wait_loadcnt_dscnt 0x0
	global_inv scope:SCOPE_SYS
	v_cmp_eq_u32_e32 vcc_lo, 0, v14
	s_and_b32 s26, vcc_lo, exec_lo
	s_delay_alu instid0(SALU_CYCLE_1)
	s_or_b32 s25, s25, s26
	s_mov_b32 s27, -1
	s_or_b32 s23, s23, exec_lo
	s_and_saveexec_b32 s26, s25
	s_cbranch_execz .LBB8_263
.LBB8_267:                              ;   in Loop: Header=BB8_264 Depth=3
	s_sleep 1
	s_trap 2
	ds_load_b64 v[14:15], v0
	s_wait_dscnt 0x0
	s_and_not1_b32 s23, s23, exec_lo
	v_cmp_ge_u64_e32 vcc_lo, v[14:15], v[52:53]
	s_or_not1_b32 s27, vcc_lo, exec_lo
	s_branch .LBB8_263
.LBB8_268:                              ;   in Loop: Header=BB8_180 Depth=2
	s_or_b32 exec_lo, exec_lo, s21
	s_and_saveexec_b32 s21, s22
	s_delay_alu instid0(SALU_CYCLE_1)
	s_xor_b32 s21, exec_lo, s21
	s_cbranch_execz .LBB8_270
; %bb.269:                              ;   in Loop: Header=BB8_180 Depth=2
	ds_store_b32 v0, v1
	s_trap 2
.LBB8_270:                              ;   in Loop: Header=BB8_180 Depth=2
	s_or_b32 exec_lo, exec_lo, s20
	;;#ASMSTART
	s_wakeup
	;;#ASMEND
.LBB8_271:                              ;   in Loop: Header=BB8_180 Depth=2
	s_or_b32 exec_lo, exec_lo, s19
.LBB8_272:                              ;   in Loop: Header=BB8_180 Depth=2
	s_and_not1_saveexec_b32 s18, s18
	s_cbranch_execz .LBB8_274
; %bb.273:                              ;   in Loop: Header=BB8_180 Depth=2
	global_wb scope:SCOPE_DEV
	s_wait_storecnt 0x0
	s_wait_loadcnt_dscnt 0x0
	global_inv scope:SCOPE_DEV
	s_barrier_signal -1
	s_barrier_wait -1
.LBB8_274:                              ;   in Loop: Header=BB8_180 Depth=2
	s_or_b32 exec_lo, exec_lo, s18
	s_delay_alu instid0(SALU_CYCLE_1)
	s_or_b32 exec_lo, exec_lo, s8
	s_and_saveexec_b32 s8, s6
	s_cbranch_execnz .LBB8_218
	s_branch .LBB8_219
.LBB8_275:                              ;   in Loop: Header=BB8_62 Depth=1
	s_delay_alu instid0(VALU_DEP_1)
	v_mov_b64_e32 v[102:103], v[114:115]
	v_mov_b32_e32 v57, v13
	s_branch .LBB8_277
.LBB8_276:                              ;   in Loop: Header=BB8_62 Depth=1
	s_delay_alu instid0(VALU_DEP_2)
	v_mov_b64_e32 v[102:103], v[114:115]
.LBB8_277:                              ;   in Loop: Header=BB8_62 Depth=1
	s_mov_b32 s8, exec_lo
	s_delay_alu instid0(VALU_DEP_1)
	v_cmpx_lt_i32_e32 0, v57
	s_cbranch_execnz .LBB8_280
; %bb.278:                              ;   in Loop: Header=BB8_62 Depth=1
	s_or_b32 exec_lo, exec_lo, s8
	s_and_saveexec_b32 s7, s3
	s_cbranch_execnz .LBB8_313
.LBB8_279:                              ;   in Loop: Header=BB8_62 Depth=1
	s_or_b32 exec_lo, exec_lo, s7
	s_and_saveexec_b32 s7, s6
	s_cbranch_execz .LBB8_61
	s_branch .LBB8_331
.LBB8_280:                              ;   in Loop: Header=BB8_62 Depth=1
	flat_load_b32 v13, v[22:23] offset:4
	s_wait_loadcnt_dscnt 0x101
	v_dual_mov_b32 v114, v0 :: v_dual_bitop2_b32 v16, 7, v34 bitop3:0x40
	s_mov_b32 s17, 0
	s_wait_loadcnt_dscnt 0x0
	v_mad_nc_u64_u32 v[14:15], v24, v13, v[100:101]
	s_delay_alu instid0(VALU_DEP_1) | instskip(SKIP_2) | instid1(VALU_DEP_2)
	v_mad_u32 v15, v25, v13, v15
	v_ashrrev_i32_e32 v13, 31, v13
	v_mul_lo_u32 v16, v16, s13
	v_mad_u32 v15, v24, v13, v15
	s_delay_alu instid0(VALU_DEP_2) | instskip(NEXT) | instid1(VALU_DEP_1)
	v_dual_add_nc_u32 v13, 1, v34 :: v_dual_ashrrev_i32 v17, 31, v16
	v_lshl_add_u64 v[112:113], v[16:17], 4, v[32:33]
	s_delay_alu instid0(VALU_DEP_3)
	v_add_nc_u64_e32 v[100:101], v[14:15], v[66:67]
	s_branch .LBB8_282
.LBB8_281:                              ;   in Loop: Header=BB8_282 Depth=2
	v_dual_sub_nc_u32 v57, v57, v84 :: v_dual_add_nc_u32 v114, v114, v18
	s_wait_xcnt 0x0
	v_add_nc_u64_e32 v[100:101], v[100:101], v[84:85]
	s_delay_alu instid0(VALU_DEP_2) | instskip(SKIP_1) | instid1(SALU_CYCLE_1)
	v_cmp_gt_i32_e32 vcc_lo, 1, v57
	s_or_b32 s17, vcc_lo, s17
	s_and_not1_b32 exec_lo, exec_lo, s17
	s_cbranch_execz .LBB8_312
.LBB8_282:                              ;   Parent Loop BB8_62 Depth=1
                                        ; =>  This Loop Header: Depth=2
                                        ;       Child Loop BB8_286 Depth 3
	v_ashrrev_i32_e32 v115, 31, v114
	s_mov_b32 s18, exec_lo
	s_delay_alu instid0(VALU_DEP_1)
	v_lshl_add_u64 v[116:117], v[114:115], 4, v[112:113]
	s_wait_loadcnt 0x0
	global_load_b128 v[14:17], v[116:117], off th:TH_LOAD_NT
	s_wait_xcnt 0x0
	v_cmpx_eq_u32_e32 0, v19
	s_cbranch_execz .LBB8_294
; %bb.283:                              ;   in Loop: Header=BB8_282 Depth=2
	s_wait_loadcnt 0x0
	v_cmp_ne_u32_e32 vcc_lo, v13, v15
	v_cmp_ne_u32_e64 s7, v13, v17
	v_mov_b32_e32 v19, 0
	s_or_b32 s7, vcc_lo, s7
	s_delay_alu instid0(SALU_CYCLE_1)
	s_and_saveexec_b32 s19, s7
	s_cbranch_execz .LBB8_293
; %bb.284:                              ;   in Loop: Header=BB8_282 Depth=2
	s_mov_b32 s23, 1
	s_mov_b32 s21, 0
                                        ; implicit-def: $sgpr20
                                        ; implicit-def: $sgpr22
	s_branch .LBB8_286
.LBB8_285:                              ;   in Loop: Header=BB8_286 Depth=3
	s_or_b32 exec_lo, exec_lo, s25
	s_delay_alu instid0(SALU_CYCLE_1) | instskip(NEXT) | instid1(SALU_CYCLE_1)
	s_and_b32 s7, exec_lo, s7
	s_or_b32 s21, s7, s21
	s_and_not1_b32 s7, s20, exec_lo
	s_and_b32 s20, s22, exec_lo
	s_delay_alu instid0(SALU_CYCLE_1)
	s_or_b32 s20, s7, s20
	s_and_not1_b32 exec_lo, exec_lo, s21
	s_cbranch_execz .LBB8_290
.LBB8_286:                              ;   Parent Loop BB8_62 Depth=1
                                        ;     Parent Loop BB8_282 Depth=2
                                        ; =>    This Inner Loop Header: Depth=3
	s_wait_loadcnt 0x0
	global_load_b128 v[14:17], v[116:117], off th:TH_LOAD_NT
	s_add_co_i32 s23, s23, 1
	s_mov_b32 s7, -1
	s_cmp_lg_u32 s23, 0x2710
	s_mov_b32 s24, -1
                                        ; implicit-def: $vgpr115
	s_cbranch_scc0 .LBB8_288
; %bb.287:                              ;   in Loop: Header=BB8_286 Depth=3
	s_or_b32 s22, s22, exec_lo
	s_wait_xcnt 0x0
	s_and_saveexec_b32 s25, s24
	s_cbranch_execz .LBB8_285
	s_branch .LBB8_289
.LBB8_288:                              ;   in Loop: Header=BB8_286 Depth=3
	s_trap 2
	ds_load_b64 v[118:119], v0
	s_mov_b32 s23, 0
	s_wait_storecnt 0x0
	s_wait_loadcnt_dscnt 0x0
	flat_load_b32 v115, v[118:119] scope:SCOPE_SYS
	s_wait_loadcnt_dscnt 0x0
	global_inv scope:SCOPE_SYS
	v_cmp_eq_u32_e32 vcc_lo, 0, v115
	s_or_not1_b32 s24, vcc_lo, exec_lo
	s_or_b32 s22, s22, exec_lo
	s_wait_xcnt 0x0
	s_and_saveexec_b32 s25, s24
	s_cbranch_execz .LBB8_285
.LBB8_289:                              ;   in Loop: Header=BB8_286 Depth=3
	s_wait_loadcnt 0x0
	v_cmp_eq_u32_e32 vcc_lo, v13, v15
	v_cmp_eq_u32_e64 s7, v13, v17
	s_and_not1_b32 s22, s22, exec_lo
	s_and_b32 s7, vcc_lo, s7
	s_delay_alu instid0(SALU_CYCLE_1)
	s_or_not1_b32 s7, s7, exec_lo
	s_branch .LBB8_285
.LBB8_290:                              ;   in Loop: Header=BB8_282 Depth=2
	s_or_b32 exec_lo, exec_lo, s21
	v_mov_b32_e32 v19, 0
	s_and_saveexec_b32 s7, s20
	s_delay_alu instid0(SALU_CYCLE_1)
	s_xor_b32 s7, exec_lo, s7
	s_cbranch_execz .LBB8_292
; %bb.291:                              ;   in Loop: Header=BB8_282 Depth=2
	v_mov_b32_e32 v19, 1
	s_wait_loadcnt 0x0
	s_wait_storecnt 0x0
	ds_store_b32 v0, v115
	s_trap 2
.LBB8_292:                              ;   in Loop: Header=BB8_282 Depth=2
	s_or_b32 exec_lo, exec_lo, s7
.LBB8_293:                              ;   in Loop: Header=BB8_282 Depth=2
	s_delay_alu instid0(SALU_CYCLE_1)
	s_or_b32 exec_lo, exec_lo, s19
.LBB8_294:                              ;   in Loop: Header=BB8_282 Depth=2
	s_delay_alu instid0(SALU_CYCLE_1)
	s_or_b32 exec_lo, exec_lo, s18
	v_cmp_lt_u32_e32 vcc_lo, 7, v57
	s_mov_b32 s7, -1
	s_cmp_lg_u32 vcc_lo, exec_lo
	s_cbranch_scc0 .LBB8_310
; %bb.295:                              ;   in Loop: Header=BB8_282 Depth=2
	s_mov_b32 s18, exec_lo
	s_wait_loadcnt 0x0
	flat_store_b8 v[100:101], v14
	s_wait_xcnt 0x0
	v_cmpx_ne_u32_e32 1, v57
	s_cbranch_execz .LBB8_297
; %bb.296:                              ;   in Loop: Header=BB8_282 Depth=2
	v_lshrrev_b32_e32 v15, 8, v14
	flat_store_b8 v[100:101], v15 offset:1
.LBB8_297:                              ;   in Loop: Header=BB8_282 Depth=2
	s_wait_xcnt 0x0
	s_or_b32 exec_lo, exec_lo, s18
	s_delay_alu instid0(SALU_CYCLE_1)
	s_mov_b32 s18, exec_lo
	v_cmpx_lt_u32_e32 2, v57
	s_cbranch_execz .LBB8_299
; %bb.298:                              ;   in Loop: Header=BB8_282 Depth=2
	flat_store_d16_hi_b8 v[100:101], v14 offset:2
.LBB8_299:                              ;   in Loop: Header=BB8_282 Depth=2
	s_wait_xcnt 0x0
	s_or_b32 exec_lo, exec_lo, s18
	s_delay_alu instid0(SALU_CYCLE_1)
	s_mov_b32 s18, exec_lo
	v_cmpx_lt_u32_e32 3, v57
	s_cbranch_execz .LBB8_301
; %bb.300:                              ;   in Loop: Header=BB8_282 Depth=2
	v_lshrrev_b32_e32 v15, 24, v14
	flat_store_b8 v[100:101], v15 offset:3
.LBB8_301:                              ;   in Loop: Header=BB8_282 Depth=2
	s_wait_xcnt 0x0
	s_or_b32 exec_lo, exec_lo, s18
	s_delay_alu instid0(SALU_CYCLE_1)
	s_mov_b32 s18, exec_lo
	v_cmpx_lt_u32_e32 4, v57
	s_cbranch_execz .LBB8_303
; %bb.302:                              ;   in Loop: Header=BB8_282 Depth=2
	flat_store_b8 v[100:101], v16 offset:4
.LBB8_303:                              ;   in Loop: Header=BB8_282 Depth=2
	s_wait_xcnt 0x0
	s_or_b32 exec_lo, exec_lo, s18
	s_delay_alu instid0(SALU_CYCLE_1)
	s_mov_b32 s18, exec_lo
	v_cmpx_lt_u32_e32 5, v57
	s_cbranch_execz .LBB8_305
; %bb.304:                              ;   in Loop: Header=BB8_282 Depth=2
	v_lshrrev_b32_e32 v15, 8, v16
	flat_store_b8 v[100:101], v15 offset:5
.LBB8_305:                              ;   in Loop: Header=BB8_282 Depth=2
	s_wait_xcnt 0x0
	s_or_b32 exec_lo, exec_lo, s18
	s_delay_alu instid0(SALU_CYCLE_1)
	s_mov_b32 s18, exec_lo
	v_cmpx_lt_u32_e32 6, v57
	s_cbranch_execz .LBB8_307
; %bb.306:                              ;   in Loop: Header=BB8_282 Depth=2
	flat_store_d16_hi_b8 v[100:101], v16 offset:6
.LBB8_307:                              ;   in Loop: Header=BB8_282 Depth=2
	s_wait_xcnt 0x0
	s_or_b32 exec_lo, exec_lo, s18
	s_and_saveexec_b32 s7, vcc_lo
	s_cbranch_execz .LBB8_309
; %bb.308:                              ;   in Loop: Header=BB8_282 Depth=2
	v_lshrrev_b32_e32 v15, 24, v16
	flat_store_b8 v[100:101], v15 offset:7
.LBB8_309:                              ;   in Loop: Header=BB8_282 Depth=2
	s_wait_xcnt 0x0
	s_or_b32 exec_lo, exec_lo, s7
	s_mov_b32 s7, 0
.LBB8_310:                              ;   in Loop: Header=BB8_282 Depth=2
	s_delay_alu instid0(SALU_CYCLE_1)
	s_and_b32 vcc_lo, exec_lo, s7
	s_cbranch_vccz .LBB8_281
; %bb.311:                              ;   in Loop: Header=BB8_282 Depth=2
	s_wait_loadcnt 0x0
	v_mov_b32_e32 v15, v16
	global_store_b64 v[100:101], v[14:15], off
	s_branch .LBB8_281
.LBB8_312:                              ;   in Loop: Header=BB8_62 Depth=1
	s_or_b32 exec_lo, exec_lo, s17
	s_delay_alu instid0(SALU_CYCLE_1)
	s_or_b32 exec_lo, exec_lo, s8
	s_and_saveexec_b32 s7, s3
	s_cbranch_execz .LBB8_279
.LBB8_313:                              ;   in Loop: Header=BB8_62 Depth=1
	s_and_saveexec_b32 s8, s4
	s_delay_alu instid0(SALU_CYCLE_1)
	s_xor_b32 s8, exec_lo, s8
	s_cbranch_execz .LBB8_328
; %bb.314:                              ;   in Loop: Header=BB8_62 Depth=1
	s_and_saveexec_b32 s17, s5
	s_cbranch_execz .LBB8_327
; %bb.315:                              ;   in Loop: Header=BB8_62 Depth=1
	s_mov_b32 s19, exec_lo
	s_mov_b32 s18, exec_lo
	v_mbcnt_lo_u32_b32 v13, s19, 0
	global_wb scope:SCOPE_DEV
	s_wait_storecnt 0x0
	s_wait_loadcnt_dscnt 0x0
	global_inv scope:SCOPE_DEV
	v_cmpx_eq_u32_e32 0, v13
	s_cbranch_execz .LBB8_317
; %bb.316:                              ;   in Loop: Header=BB8_62 Depth=1
	s_bcnt1_i32_b32 s19, s19
	s_delay_alu instid0(SALU_CYCLE_1)
	v_dual_mov_b32 v15, v12 :: v_dual_mov_b32 v14, s19
	s_wait_loadcnt 0x0
	ds_add_u64 v0, v[14:15]
	s_trap 2
.LBB8_317:                              ;   in Loop: Header=BB8_62 Depth=1
	s_or_b32 exec_lo, exec_lo, s18
	s_trap 2
	ds_load_b64 v[14:15], v0
	s_wait_dscnt 0x0
	v_add_nc_u64_e32 v[52:53], v[52:53], v[80:81]
	s_mov_b32 s18, exec_lo
	s_delay_alu instid0(VALU_DEP_1)
	v_cmpx_lt_u64_e64 v[14:15], v[52:53]
	s_cbranch_execz .LBB8_326
; %bb.318:                              ;   in Loop: Header=BB8_62 Depth=1
	s_mov_b32 s19, 0
	s_mov_b32 s22, 0
                                        ; implicit-def: $sgpr20
                                        ; implicit-def: $sgpr21
	s_branch .LBB8_320
.LBB8_319:                              ;   in Loop: Header=BB8_320 Depth=2
	s_or_b32 exec_lo, exec_lo, s24
	s_delay_alu instid0(SALU_CYCLE_1) | instskip(NEXT) | instid1(SALU_CYCLE_1)
	s_and_b32 s23, exec_lo, s25
	s_or_b32 s19, s23, s19
	s_and_not1_b32 s20, s20, exec_lo
	s_and_b32 s23, s21, exec_lo
	s_delay_alu instid0(SALU_CYCLE_1)
	s_or_b32 s20, s20, s23
	s_and_not1_b32 exec_lo, exec_lo, s19
	s_cbranch_execz .LBB8_324
.LBB8_320:                              ;   Parent Loop BB8_62 Depth=1
                                        ; =>  This Inner Loop Header: Depth=2
	s_add_co_i32 s22, s22, 1
	s_delay_alu instid0(SALU_CYCLE_1) | instskip(SKIP_1) | instid1(SALU_CYCLE_1)
	s_cmp_lg_u32 s22, 0x2710
	s_cselect_b32 s23, -1, 0
	s_and_b32 vcc_lo, exec_lo, s23
	s_cbranch_vccz .LBB8_322
; %bb.321:                              ;   in Loop: Header=BB8_320 Depth=2
	s_mov_b32 s25, -1
	s_or_b32 s21, s21, exec_lo
	s_and_saveexec_b32 s24, s23
	s_cbranch_execz .LBB8_319
	s_branch .LBB8_323
.LBB8_322:                              ;   in Loop: Header=BB8_320 Depth=2
	s_trap 2
	ds_load_b64 v[14:15], v0
	s_and_not1_b32 s23, s23, exec_lo
	s_mov_b32 s22, 0
	s_wait_loadcnt_dscnt 0x0
	flat_load_b32 v13, v[14:15] scope:SCOPE_SYS
	s_wait_loadcnt_dscnt 0x0
	global_inv scope:SCOPE_SYS
	v_cmp_eq_u32_e32 vcc_lo, 0, v13
	s_and_b32 s24, vcc_lo, exec_lo
	s_delay_alu instid0(SALU_CYCLE_1)
	s_or_b32 s23, s23, s24
	s_mov_b32 s25, -1
	s_or_b32 s21, s21, exec_lo
	s_and_saveexec_b32 s24, s23
	s_cbranch_execz .LBB8_319
.LBB8_323:                              ;   in Loop: Header=BB8_320 Depth=2
	s_sleep 1
	s_trap 2
	ds_load_b64 v[14:15], v0
	s_wait_dscnt 0x0
	s_and_not1_b32 s21, s21, exec_lo
	v_cmp_ge_u64_e32 vcc_lo, v[14:15], v[52:53]
	s_or_not1_b32 s25, vcc_lo, exec_lo
	s_branch .LBB8_319
.LBB8_324:                              ;   in Loop: Header=BB8_62 Depth=1
	s_or_b32 exec_lo, exec_lo, s19
	s_and_saveexec_b32 s19, s20
	s_delay_alu instid0(SALU_CYCLE_1)
	s_xor_b32 s19, exec_lo, s19
	s_cbranch_execz .LBB8_326
; %bb.325:                              ;   in Loop: Header=BB8_62 Depth=1
	ds_store_b32 v0, v1
	s_trap 2
.LBB8_326:                              ;   in Loop: Header=BB8_62 Depth=1
	s_or_b32 exec_lo, exec_lo, s18
	;;#ASMSTART
	s_wakeup
	;;#ASMEND
.LBB8_327:                              ;   in Loop: Header=BB8_62 Depth=1
	s_or_b32 exec_lo, exec_lo, s17
.LBB8_328:                              ;   in Loop: Header=BB8_62 Depth=1
	s_and_not1_saveexec_b32 s8, s8
	s_cbranch_execz .LBB8_330
; %bb.329:                              ;   in Loop: Header=BB8_62 Depth=1
	global_wb scope:SCOPE_DEV
	s_wait_storecnt 0x0
	s_wait_loadcnt_dscnt 0x0
	global_inv scope:SCOPE_DEV
	s_barrier_signal -1
	s_barrier_wait -1
.LBB8_330:                              ;   in Loop: Header=BB8_62 Depth=1
	s_or_b32 exec_lo, exec_lo, s8
	s_delay_alu instid0(SALU_CYCLE_1)
	s_or_b32 exec_lo, exec_lo, s7
	s_and_saveexec_b32 s7, s6
	s_cbranch_execz .LBB8_61
.LBB8_331:                              ;   in Loop: Header=BB8_62 Depth=1
	v_add_nc_u64_e32 v[38:39], 1, v[38:39]
	global_wb scope:SCOPE_SYS
	s_wait_storecnt 0x0
	s_wait_loadcnt_dscnt 0x0
	flat_store_b64 v[48:49], v[38:39] scope:SCOPE_SYS
	s_branch .LBB8_61
.LBB8_332:
	s_or_b32 exec_lo, exec_lo, s14
	s_delay_alu instid0(SALU_CYCLE_1)
	s_or_b32 exec_lo, exec_lo, s12
	s_and_saveexec_b32 s1, s9
	s_cbranch_execz .LBB8_46
.LBB8_333:
	s_wait_dscnt 0x0
	flat_store_b64 v[28:29], v[38:39] offset:104
	s_wait_xcnt 0x0
	s_or_b32 exec_lo, exec_lo, s1
	s_and_saveexec_b32 s1, s0
	s_cbranch_execnz .LBB8_47
	s_branch .LBB8_48
.LBB8_334:
	s_or_b32 exec_lo, exec_lo, s4
	s_and_saveexec_b32 s4, s5
	s_delay_alu instid0(SALU_CYCLE_1)
	s_xor_b32 s4, exec_lo, s4
	s_cbranch_execz .LBB8_336
; %bb.335:
	v_mov_b32_e32 v0, 1
	ds_store_b32 v0, v0
	s_trap 2
.LBB8_336:
	s_or_b32 exec_lo, exec_lo, s3
	;;#ASMSTART
	s_wakeup
	;;#ASMEND
.LBB8_337:
	s_or_b32 exec_lo, exec_lo, s2
.LBB8_338:
	s_and_not1_saveexec_b32 s1, s1
	s_cbranch_execz .LBB8_340
; %bb.339:
	global_wb scope:SCOPE_DEV
	s_wait_storecnt 0x0
	s_wait_loadcnt_dscnt 0x0
	global_inv scope:SCOPE_DEV
	s_barrier_signal -1
	s_barrier_wait -1
.LBB8_340:
	s_or_b32 exec_lo, exec_lo, s0
.LBB8_341:
	s_delay_alu instid0(SALU_CYCLE_1)
	s_or_b32 exec_lo, exec_lo, s11
	s_clause 0xf
	scratch_load_b32 v63, off, s32
	scratch_load_b32 v62, off, s32 offset:4
	scratch_load_b32 v61, off, s32 offset:8
	;; [unrolled: 1-line block ×15, first 2 shown]
	s_wait_loadcnt_dscnt 0x0
	s_set_pc_i64 s[30:31]
.Lfunc_end8:
	.size	_ZN12_GLOBAL__N_17runRingIa7FuncSumIaE7ProtoLLLi0ELi2ELi0ELb0EEEviiP15ncclDevWorkColl, .Lfunc_end8-_ZN12_GLOBAL__N_17runRingIa7FuncSumIaE7ProtoLLLi0ELi2ELi0ELb0EEEviiP15ncclDevWorkColl
                                        ; -- End function
	.set .L_ZN12_GLOBAL__N_17runRingIa7FuncSumIaE7ProtoLLLi0ELi2ELi0ELb0EEEviiP15ncclDevWorkColl.num_vgpr, 120
	.set .L_ZN12_GLOBAL__N_17runRingIa7FuncSumIaE7ProtoLLLi0ELi2ELi0ELb0EEEviiP15ncclDevWorkColl.num_agpr, 0
	.set .L_ZN12_GLOBAL__N_17runRingIa7FuncSumIaE7ProtoLLLi0ELi2ELi0ELb0EEEviiP15ncclDevWorkColl.numbered_sgpr, 33
	.set .L_ZN12_GLOBAL__N_17runRingIa7FuncSumIaE7ProtoLLLi0ELi2ELi0ELb0EEEviiP15ncclDevWorkColl.num_named_barrier, 0
	.set .L_ZN12_GLOBAL__N_17runRingIa7FuncSumIaE7ProtoLLLi0ELi2ELi0ELb0EEEviiP15ncclDevWorkColl.private_seg_size, 68
	.set .L_ZN12_GLOBAL__N_17runRingIa7FuncSumIaE7ProtoLLLi0ELi2ELi0ELb0EEEviiP15ncclDevWorkColl.uses_vcc, 1
	.set .L_ZN12_GLOBAL__N_17runRingIa7FuncSumIaE7ProtoLLLi0ELi2ELi0ELb0EEEviiP15ncclDevWorkColl.uses_flat_scratch, 1
	.set .L_ZN12_GLOBAL__N_17runRingIa7FuncSumIaE7ProtoLLLi0ELi2ELi0ELb0EEEviiP15ncclDevWorkColl.has_dyn_sized_stack, 0
	.set .L_ZN12_GLOBAL__N_17runRingIa7FuncSumIaE7ProtoLLLi0ELi2ELi0ELb0EEEviiP15ncclDevWorkColl.has_recursion, 0
	.set .L_ZN12_GLOBAL__N_17runRingIa7FuncSumIaE7ProtoLLLi0ELi2ELi0ELb0EEEviiP15ncclDevWorkColl.has_indirect_call, 0
	.section	.AMDGPU.csdata,"",@progbits
; Function info:
; codeLenInByte = 11612
; TotalNumSgprs: 35
; NumVgprs: 120
; ScratchSize: 68
; MemoryBound: 0
	.text
	.p2align	2                               ; -- Begin function _Z42ncclDevFunc_AllGather_RING_LL_Sum_i8_0_0_2v
	.type	_Z42ncclDevFunc_AllGather_RING_LL_Sum_i8_0_0_2v,@function
_Z42ncclDevFunc_AllGather_RING_LL_Sum_i8_0_0_2v: ; @_Z42ncclDevFunc_AllGather_RING_LL_Sum_i8_0_0_2v
; %bb.0:
	s_wait_loadcnt_dscnt 0x0
	s_wait_kmcnt 0x0
	s_mov_b32 s47, s33
	s_mov_b32 s33, s32
	s_or_saveexec_b32 s0, -1
	scratch_store_b32 off, v42, s33 offset:8 ; 4-byte Folded Spill
	s_wait_xcnt 0x0
	s_mov_b32 exec_lo, s0
	s_add_co_i32 s32, s32, 16
	s_clause 0x1
	scratch_store_b32 off, v40, s33 offset:4
	; meta instruction
	scratch_store_b32 off, v41, s33
	v_writelane_b32 v42, s30, 0
	v_writelane_b32 v42, s31, 1
	s_trap 2
	ds_load_b32 v0, v0
	s_wait_xcnt 0x1
	v_mov_b32_e32 v40, v31
	s_wait_dscnt 0x0
	v_cmp_gt_i32_e32 vcc_lo, 1, v0
	s_cbranch_vccnz .LBB9_8
; %bb.1:
	s_wait_xcnt 0x0
	v_and_b32_e32 v41, 0x3ff, v40
	s_mov_b32 s42, s12
	s_mov_b64 s[40:41], s[8:9]
	s_mov_b32 s43, 0
	s_get_pc_i64 s[44:45]
	s_add_nc_u64 s[44:45], s[44:45], _ZN12_GLOBAL__N_17runRingIa7FuncSumIaE7ProtoLLLi0ELi2ELi0ELb0EEEviiP15ncclDevWorkColl@rel64+4
	s_branch .LBB9_3
.LBB9_2:                                ;   in Loop: Header=BB9_3 Depth=1
	s_or_b32 exec_lo, exec_lo, s46
	s_trap 2
	ds_load_b32 v0, v0
	s_add_co_i32 s43, s43, 1
	s_wait_dscnt 0x0
	v_cmp_lt_i32_e32 vcc_lo, s43, v0
	s_cbranch_vccz .LBB9_8
.LBB9_3:                                ; =>This Inner Loop Header: Depth=1
	s_trap 2
	ds_load_b32 v0, v0
	s_cmp_eq_u32 s43, 0
	s_cbranch_scc1 .LBB9_6
; %bb.4:                                ;   in Loop: Header=BB9_3 Depth=1
	s_trap 2
	s_wait_dscnt 0x0
	ds_load_b32 v1, v0
	s_wait_dscnt 0x0
	v_xor_b32_e32 v1, v1, v0
	s_delay_alu instid0(VALU_DEP_1) | instskip(NEXT) | instid1(VALU_DEP_1)
	v_and_b32_e32 v1, 0xff0000, v1
	v_cmp_eq_u32_e32 vcc_lo, 0, v1
	s_cbranch_vccnz .LBB9_6
; %bb.5:                                ;   in Loop: Header=BB9_3 Depth=1
	s_wait_storecnt 0x0
	s_barrier_signal -1
	s_barrier_wait -1
	ds_load_b32 v0, v0
.LBB9_6:                                ;   in Loop: Header=BB9_3 Depth=1
	s_wait_dscnt 0x0
	v_lshrrev_b32_e32 v0, 11, v0
	s_mov_b32 s46, exec_lo
	s_delay_alu instid0(VALU_DEP_1) | instskip(NEXT) | instid1(VALU_DEP_1)
	v_and_b32_e32 v1, 0x1fe0, v0
	v_cmpx_lt_u32_e64 v41, v1
	s_cbranch_execz .LBB9_2
; %bb.7:                                ;   in Loop: Header=BB9_3 Depth=1
	s_mov_b64 s[0:1], src_shared_base
	v_dual_mov_b32 v31, v40 :: v_dual_mov_b32 v0, v41
	v_mov_b32_e32 v3, s1
	s_mov_b64 s[8:9], s[40:41]
	s_mov_b32 s12, s42
	s_swap_pc_i64 s[30:31], s[44:45]
	s_branch .LBB9_2
.LBB9_8:
	s_clause 0x1
	scratch_load_b32 v41, off, s33
	scratch_load_b32 v40, off, s33 offset:4
	v_readlane_b32 s30, v42, 0
	v_readlane_b32 s31, v42, 1
	s_mov_b32 s32, s33
	s_wait_xcnt 0x0
	s_or_saveexec_b32 s0, -1
	scratch_load_b32 v42, off, s33 offset:8 ; 4-byte Folded Reload
	s_wait_xcnt 0x0
	s_mov_b32 exec_lo, s0
	s_mov_b32 s33, s47
	s_wait_loadcnt 0x0
	s_set_pc_i64 s[30:31]
.Lfunc_end9:
	.size	_Z42ncclDevFunc_AllGather_RING_LL_Sum_i8_0_0_2v, .Lfunc_end9-_Z42ncclDevFunc_AllGather_RING_LL_Sum_i8_0_0_2v
                                        ; -- End function
	.set .L_Z42ncclDevFunc_AllGather_RING_LL_Sum_i8_0_0_2v.num_vgpr, max(43, .L_ZN12_GLOBAL__N_17runRingIa7FuncSumIaE7ProtoLLLi0ELi2ELi0ELb0EEEviiP15ncclDevWorkColl.num_vgpr)
	.set .L_Z42ncclDevFunc_AllGather_RING_LL_Sum_i8_0_0_2v.num_agpr, max(0, .L_ZN12_GLOBAL__N_17runRingIa7FuncSumIaE7ProtoLLLi0ELi2ELi0ELb0EEEviiP15ncclDevWorkColl.num_agpr)
	.set .L_Z42ncclDevFunc_AllGather_RING_LL_Sum_i8_0_0_2v.numbered_sgpr, max(48, .L_ZN12_GLOBAL__N_17runRingIa7FuncSumIaE7ProtoLLLi0ELi2ELi0ELb0EEEviiP15ncclDevWorkColl.numbered_sgpr)
	.set .L_Z42ncclDevFunc_AllGather_RING_LL_Sum_i8_0_0_2v.num_named_barrier, max(0, .L_ZN12_GLOBAL__N_17runRingIa7FuncSumIaE7ProtoLLLi0ELi2ELi0ELb0EEEviiP15ncclDevWorkColl.num_named_barrier)
	.set .L_Z42ncclDevFunc_AllGather_RING_LL_Sum_i8_0_0_2v.private_seg_size, 16+max(.L_ZN12_GLOBAL__N_17runRingIa7FuncSumIaE7ProtoLLLi0ELi2ELi0ELb0EEEviiP15ncclDevWorkColl.private_seg_size)
	.set .L_Z42ncclDevFunc_AllGather_RING_LL_Sum_i8_0_0_2v.uses_vcc, or(1, .L_ZN12_GLOBAL__N_17runRingIa7FuncSumIaE7ProtoLLLi0ELi2ELi0ELb0EEEviiP15ncclDevWorkColl.uses_vcc)
	.set .L_Z42ncclDevFunc_AllGather_RING_LL_Sum_i8_0_0_2v.uses_flat_scratch, or(1, .L_ZN12_GLOBAL__N_17runRingIa7FuncSumIaE7ProtoLLLi0ELi2ELi0ELb0EEEviiP15ncclDevWorkColl.uses_flat_scratch)
	.set .L_Z42ncclDevFunc_AllGather_RING_LL_Sum_i8_0_0_2v.has_dyn_sized_stack, or(0, .L_ZN12_GLOBAL__N_17runRingIa7FuncSumIaE7ProtoLLLi0ELi2ELi0ELb0EEEviiP15ncclDevWorkColl.has_dyn_sized_stack)
	.set .L_Z42ncclDevFunc_AllGather_RING_LL_Sum_i8_0_0_2v.has_recursion, or(1, .L_ZN12_GLOBAL__N_17runRingIa7FuncSumIaE7ProtoLLLi0ELi2ELi0ELb0EEEviiP15ncclDevWorkColl.has_recursion)
	.set .L_Z42ncclDevFunc_AllGather_RING_LL_Sum_i8_0_0_2v.has_indirect_call, or(0, .L_ZN12_GLOBAL__N_17runRingIa7FuncSumIaE7ProtoLLLi0ELi2ELi0ELb0EEEviiP15ncclDevWorkColl.has_indirect_call)
	.section	.AMDGPU.csdata,"",@progbits
; Function info:
; codeLenInByte = 436
; TotalNumSgprs: 50
; NumVgprs: 120
; ScratchSize: 84
; MemoryBound: 0
	.text
	.p2align	2                               ; -- Begin function _ZN12_GLOBAL__N_17runRingIa7FuncSumIaE11ProtoSimpleILi2ELi2ELi0ELi2ELi0ELi0EELi0ELi2ELi0ELb0EEEviiP15ncclDevWorkColl
	.type	_ZN12_GLOBAL__N_17runRingIa7FuncSumIaE11ProtoSimpleILi2ELi2ELi0ELi2ELi0ELi0EELi0ELi2ELi0ELb0EEEviiP15ncclDevWorkColl,@function
_ZN12_GLOBAL__N_17runRingIa7FuncSumIaE11ProtoSimpleILi2ELi2ELi0ELi2ELi0ELi0EELi0ELi2ELi0ELb0EEEviiP15ncclDevWorkColl: ; @_ZN12_GLOBAL__N_17runRingIa7FuncSumIaE11ProtoSimpleILi2ELi2ELi0ELi2ELi0ELi0EELi0ELi2ELi0ELb0EEEviiP15ncclDevWorkColl
; %bb.0:
	s_wait_loadcnt_dscnt 0x0
	s_wait_kmcnt 0x0
	s_mov_b32 s59, s33
	s_mov_b32 s33, s32
	s_or_saveexec_b32 s0, -1
	scratch_store_b32 off, v104, s33 offset:128 ; 4-byte Folded Spill
	s_wait_xcnt 0x0
	s_mov_b32 exec_lo, s0
	s_addk_co_i32 s32, 0x90
	s_clause 0x1f
	scratch_store_b32 off, v40, s33 offset:124
	; meta instruction
	scratch_store_b32 off, v41, s33 offset:120
	; meta instruction
	;; [unrolled: 2-line block ×31, first 2 shown]
	scratch_store_b32 off, v95, s33
	v_writelane_b32 v104, s30, 0
	v_writelane_b32 v104, s31, 1
	s_trap 2
	s_clause 0x2
	flat_load_b32 v11, v[2:3]
	flat_load_b128 v[4:7], v[2:3] offset:72
	flat_load_b64 v[12:13], v[2:3] offset:88
	ds_load_b32 v9, v0
	ds_load_b64 v[18:19], v0
	s_mov_b32 s0, exec_lo
                                        ; implicit-def: $vgpr38_vgpr39
                                        ; implicit-def: $vgpr16_vgpr17
	s_wait_dscnt 0x1
	v_readfirstlane_b32 s18, v9
	s_wait_loadcnt 0x2
	v_bfe_u32 v10, v11, 8, 8
	v_bitop3_b32 v8, v11, 0xff, v11 bitop3:0x3f
	v_and_b32_e32 v11, 0xff, v11
	s_delay_alu instid0(VALU_DEP_2) | instskip(NEXT) | instid1(VALU_DEP_1)
	v_add_nc_u32_e32 v14, v10, v8
	v_ashrrev_i32_e32 v15, 31, v14
	s_wait_loadcnt 0x1
	s_delay_alu instid0(VALU_DEP_1)
	v_mul_u64_e32 v[14:15], v[6:7], v[14:15]
	s_wait_xcnt 0x0
	v_cmpx_ne_u32_e64 v9, v11
	s_xor_b32 s0, exec_lo, s0
	s_cbranch_execz .LBB10_6
; %bb.1:
	s_mov_b32 s1, exec_lo
                                        ; implicit-def: $vgpr38_vgpr39
                                        ; implicit-def: $vgpr16_vgpr17
	v_cmpx_ne_u32_e64 v9, v10
	s_xor_b32 s1, exec_lo, s1
	s_cbranch_execz .LBB10_3
; %bb.2:
	flat_load_b64 v[10:11], v[2:3] offset:96
	v_add_nc_u32_e32 v8, v9, v8
	s_delay_alu instid0(VALU_DEP_1) | instskip(NEXT) | instid1(VALU_DEP_1)
	v_mad_nc_u64_u32 v[16:17], v6, v8, v[4:5]
	v_mad_u32 v9, v7, v8, v17
	v_ashrrev_i32_e32 v8, 31, v8
	s_delay_alu instid0(VALU_DEP_1)
	v_mad_u32 v17, v6, v8, v9
	s_wait_loadcnt_dscnt 0x0
	v_lshrrev_b64 v[38:39], 21, v[10:11]
.LBB10_3:
	s_wait_xcnt 0x0
	s_and_not1_saveexec_b32 s1, s1
	s_cbranch_execz .LBB10_5
; %bb.4:
	flat_load_b32 v6, v[2:3] offset:100
	v_add_nc_u64_e32 v[16:17], v[14:15], v[4:5]
	s_wait_loadcnt_dscnt 0x0
	v_lshrrev_b32_e32 v38, 10, v6
	v_mov_b64_e32 v[6:7], v[12:13]
.LBB10_5:
	s_wait_xcnt 0x0
	s_or_b32 exec_lo, exec_lo, s1
.LBB10_6:
	s_and_not1_saveexec_b32 s0, s0
	s_cbranch_execz .LBB10_8
; %bb.7:
	flat_load_b64 v[38:39], v[2:3] offset:96
	v_mov_b64_e32 v[16:17], 0
	v_mov_b64_e32 v[6:7], v[4:5]
.LBB10_8:
	s_wait_xcnt 0x0
	s_or_b32 exec_lo, exec_lo, s0
	flat_load_b128 v[8:11], v[2:3] offset:16
	s_wait_loadcnt 0x1
	v_add_nc_u64_e32 v[4:5], v[12:13], v[4:5]
	s_mov_b32 s0, exec_lo
	s_delay_alu instid0(VALU_DEP_1)
	v_add_nc_u64_e32 v[20:21], v[4:5], v[14:15]
	s_wait_xcnt 0x0
	v_cmpx_ge_i32_e64 v0, v1
	s_xor_b32 s0, exec_lo, s0
	s_cbranch_execz .LBB10_33
; %bb.9:
	s_wait_dscnt 0x1
	flat_load_b32 v2, v[18:19]
	s_mov_b32 s1, exec_lo
	s_wait_loadcnt_dscnt 0x0
	v_ashrrev_i32_e32 v3, 31, v2
	s_delay_alu instid0(VALU_DEP_1) | instskip(NEXT) | instid1(VALU_DEP_1)
	v_mul_u64_e32 v[2:3], v[20:21], v[2:3]
	v_add_nc_u64_e32 v[4:5], v[8:9], v[2:3]
	s_wait_xcnt 0x0
	s_delay_alu instid0(VALU_DEP_1)
	v_cmpx_ne_u64_e64 v[10:11], v[4:5]
	s_cbranch_execz .LBB10_32
; %bb.10:
	v_sub_nc_u32_e32 v18, v0, v1
	v_add_nc_u64_e32 v[8:9], v[8:9], v[16:17]
	s_mov_b32 s2, 0
	s_mov_b32 s3, 0
	s_mov_b32 s4, exec_lo
	v_ashrrev_i16 v0, 15, v18
	s_delay_alu instid0(VALU_DEP_2) | instskip(NEXT) | instid1(VALU_DEP_2)
	v_add_nc_u64_e32 v[2:3], v[8:9], v[2:3]
	v_lshrrev_b16 v0, 11, v0
	s_delay_alu instid0(VALU_DEP_1) | instskip(NEXT) | instid1(VALU_DEP_1)
	v_add_nc_u16 v5, v18, v0
	v_and_b32_e32 v0, 0xffffffe0, v5
	s_delay_alu instid0(VALU_DEP_1) | instskip(SKIP_1) | instid1(VALU_DEP_2)
	v_sub_nc_u16 v4, v18, v0
	v_add_nc_u64_e32 v[0:1], v[10:11], v[16:17]
	v_cmpx_gt_i16_e32 1, v4
; %bb.11:
	s_delay_alu instid0(VALU_DEP_2) | instskip(NEXT) | instid1(VALU_DEP_1)
	v_bitop3_b32 v8, v0, 15, v2 bitop3:0xc8
	v_cmp_ne_u32_e32 vcc_lo, 0, v8
	s_and_b32 s3, vcc_lo, exec_lo
; %bb.12:
	s_or_b32 exec_lo, exec_lo, s4
	v_cndmask_b32_e64 v8, 0, 1, s3
	v_ashrrev_i16 v20, 5, v5
	s_delay_alu instid0(VALU_DEP_2)
	v_cmp_ne_u32_e32 vcc_lo, 0, v8
	s_cbranch_vccz .LBB10_14
; %bb.13:
	v_mov_b64_e32 v[8:9], 0
	s_mov_b32 s5, -1
	s_mov_b32 s3, 0
                                        ; implicit-def: $vgpr10_vgpr11
                                        ; implicit-def: $vgpr4_vgpr5
                                        ; implicit-def: $vgpr15
	s_and_saveexec_b32 s4, s5
	s_cbranch_execnz .LBB10_23
	s_branch .LBB10_26
.LBB10_14:
	v_dual_ashrrev_i32 v5, 31, v7 :: v_dual_mov_b32 v9, 0
	s_delay_alu instid0(VALU_DEP_3) | instskip(SKIP_2) | instid1(VALU_DEP_2)
	v_bfe_i32 v10, v20, 0, 16
	s_mov_b32 s5, 0
	s_mov_b32 s3, -1
	v_lshrrev_b32_e32 v8, 21, v5
                                        ; implicit-def: $vgpr18
	s_delay_alu instid0(VALU_DEP_2) | instskip(NEXT) | instid1(VALU_DEP_2)
	v_ashrrev_i32_e32 v11, 31, v10
	v_add_nc_u64_e32 v[8:9], v[6:7], v[8:9]
	s_delay_alu instid0(VALU_DEP_1) | instskip(SKIP_1) | instid1(VALU_DEP_2)
	v_ashrrev_i64 v[12:13], 11, v[8:9]
	v_mov_b64_e32 v[8:9], 0
	v_sub_nc_u64_e32 v[14:15], v[12:13], v[10:11]
                                        ; implicit-def: $vgpr10_vgpr11
	s_delay_alu instid0(VALU_DEP_1)
	v_cmp_gt_i64_e32 vcc_lo, 1, v[14:15]
	v_bfe_i32 v15, v4, 0, 16
                                        ; implicit-def: $vgpr4_vgpr5
	s_and_saveexec_b32 s4, vcc_lo
	s_cbranch_execz .LBB10_22
; %bb.15:
	v_lshlrev_b64_e32 v[4:5], 11, v[12:13]
	v_mov_b64_e32 v[8:9], 0
	s_mov_b32 s6, 0
	s_mov_b32 s2, exec_lo
                                        ; implicit-def: $vgpr10_vgpr11
                                        ; implicit-def: $vgpr12_vgpr13
                                        ; implicit-def: $vgpr18
	s_delay_alu instid0(VALU_DEP_2)
	v_cmpx_ne_u64_e64 v[6:7], v[4:5]
	s_cbranch_execz .LBB10_21
; %bb.16:
	v_sub_nc_u64_e32 v[18:19], v[6:7], v[4:5]
	s_mov_b32 s3, exec_lo
	s_delay_alu instid0(VALU_DEP_1) | instskip(NEXT) | instid1(VALU_DEP_1)
	v_dual_mov_b32 v11, 0 :: v_dual_ashrrev_i32 v7, 31, v19
	v_lshrrev_b32_e32 v10, 23, v7
	s_delay_alu instid0(VALU_DEP_1) | instskip(NEXT) | instid1(VALU_DEP_1)
	v_add_nc_u64_e32 v[8:9], v[18:19], v[10:11]
	v_ashrrev_i64 v[16:17], 9, v[8:9]
	v_and_b32_e32 v8, 0xfffffe00, v8
	s_delay_alu instid0(VALU_DEP_1) | instskip(SKIP_1) | instid1(VALU_DEP_2)
	v_sub_nc_u64_e32 v[12:13], v[18:19], v[8:9]
	v_add_nc_u64_e32 v[8:9], v[8:9], v[4:5]
	v_cmpx_lt_i64_e32 15, v[12:13]
; %bb.17:
	v_and_b32_e32 v10, 15, v6
	v_add_nc_u64_e32 v[16:17], 1, v[16:17]
	s_delay_alu instid0(VALU_DEP_2) | instskip(SKIP_1) | instid1(VALU_DEP_2)
	v_sub_nc_u64_e32 v[6:7], v[12:13], v[10:11]
	v_mov_b64_e32 v[12:13], v[10:11]
	v_add_nc_u64_e32 v[8:9], v[6:7], v[8:9]
; %bb.18:
	s_or_b32 exec_lo, exec_lo, s3
	v_lshlrev_b32_e32 v6, 5, v14
	s_mov_b32 s3, 0
	s_mov_b32 s5, -1
	s_delay_alu instid0(VALU_DEP_1) | instskip(NEXT) | instid1(VALU_DEP_1)
	v_sub_nc_u32_e32 v6, v15, v6
	v_ashrrev_i32_e32 v7, 31, v6
	s_delay_alu instid0(VALU_DEP_1) | instskip(NEXT) | instid1(VALU_DEP_1)
	v_lshrrev_b32_e32 v7, 27, v7
	v_add_nc_u32_e32 v7, v6, v7
	s_delay_alu instid0(VALU_DEP_1) | instskip(NEXT) | instid1(VALU_DEP_1)
	v_and_b32_e32 v10, 0xffffffe0, v7
	v_dual_ashrrev_i32 v7, 5, v7 :: v_dual_sub_nc_u32 v6, v6, v10
	s_delay_alu instid0(VALU_DEP_1) | instskip(NEXT) | instid1(VALU_DEP_1)
	v_lshlrev_b32_e32 v10, 4, v6
	v_lshl_add_u32 v10, v7, 9, v10
	s_delay_alu instid0(VALU_DEP_1) | instskip(NEXT) | instid1(VALU_DEP_1)
	v_ashrrev_i32_e32 v11, 31, v10
	v_sub_nc_u64_e32 v[18:19], v[18:19], v[10:11]
	s_delay_alu instid0(VALU_DEP_1)
	v_cmp_gt_i64_e32 vcc_lo, 16, v[18:19]
                                        ; implicit-def: $vgpr18
	s_and_saveexec_b32 s6, vcc_lo
; %bb.19:
	v_sub_nc_u32_e32 v7, v7, v16
	v_cmp_ne_u64_e32 vcc_lo, 0, v[12:13]
	s_xor_b32 s5, exec_lo, -1
	s_delay_alu instid0(VALU_DEP_2)
	v_lshl_add_u32 v18, v7, 5, v6
	s_and_b32 s3, vcc_lo, exec_lo
; %bb.20:
	s_or_b32 exec_lo, exec_lo, s6
	s_delay_alu instid0(SALU_CYCLE_1)
	s_and_b32 s6, s5, exec_lo
	s_and_b32 s5, s3, exec_lo
.LBB10_21:
	s_or_b32 exec_lo, exec_lo, s2
	v_mov_b64_e32 v[6:7], v[12:13]
	s_xor_b32 s3, exec_lo, -1
	s_and_b32 s2, s6, exec_lo
	s_and_b32 s5, s5, exec_lo
.LBB10_22:
	s_or_b32 exec_lo, exec_lo, s4
	s_and_saveexec_b32 s4, s5
	s_cbranch_execz .LBB10_26
.LBB10_23:
	v_dual_ashrrev_i32 v12, 31, v18 :: v_dual_ashrrev_i32 v13, 31, v7
	s_delay_alu instid0(VALU_DEP_1) | instskip(NEXT) | instid1(VALU_DEP_1)
	v_dual_lshrrev_b32 v14, 27, v12 :: v_dual_lshrrev_b32 v12, 23, v13
	v_dual_mov_b32 v13, 0 :: v_dual_add_nc_u32 v14, v18, v14
	s_delay_alu instid0(VALU_DEP_1) | instskip(NEXT) | instid1(VALU_DEP_2)
	v_add_nc_u64_e32 v[12:13], v[6:7], v[12:13]
	v_ashrrev_i32_e32 v6, 5, v14
	s_delay_alu instid0(VALU_DEP_2) | instskip(NEXT) | instid1(VALU_DEP_2)
	v_ashrrev_i64 v[12:13], 9, v[12:13]
	v_ashrrev_i32_e32 v7, 31, v6
	s_delay_alu instid0(VALU_DEP_1)
	v_cmp_gt_i64_e32 vcc_lo, v[12:13], v[6:7]
	s_and_b32 exec_lo, exec_lo, vcc_lo
	s_cbranch_execz .LBB10_26
; %bb.24:
	v_lshlrev_b32_e32 v7, 5, v6
	s_mov_b32 vcc_lo, exec_lo
	s_delay_alu instid0(VALU_DEP_1) | instskip(NEXT) | instid1(VALU_DEP_1)
	v_sub_nc_u32_e32 v7, v18, v7
	v_lshl_add_u32 v6, v6, 9, v7
	s_delay_alu instid0(VALU_DEP_1) | instskip(NEXT) | instid1(VALU_DEP_1)
	v_ashrrev_i32_e32 v7, 31, v6
	v_add_nc_u64_e32 v[8:9], v[8:9], v[6:7]
	s_delay_alu instid0(VALU_DEP_1)
	v_add_nc_u64_e32 v[6:7], v[8:9], v[2:3]
	v_add_nc_u64_e32 v[8:9], v[8:9], v[0:1]
.LBB10_25:                              ; =>This Inner Loop Header: Depth=1
	s_clause 0xf
	flat_load_u8 v12, v[8:9] th:TH_LOAD_NT
	flat_load_u8 v13, v[8:9] offset:32 th:TH_LOAD_NT
	flat_load_u8 v14, v[8:9] offset:64 th:TH_LOAD_NT
	;; [unrolled: 1-line block ×15, first 2 shown]
	s_wait_loadcnt_dscnt 0xf0f
	flat_store_b8 v[6:7], v12 th:TH_STORE_NT
	s_wait_loadcnt_dscnt 0xe0f
	flat_store_b8 v[6:7], v13 offset:32 th:TH_STORE_NT
	s_wait_loadcnt_dscnt 0xd0f
	flat_store_b8 v[6:7], v14 offset:64 th:TH_STORE_NT
	;; [unrolled: 2-line block ×15, first 2 shown]
	s_cbranch_vccnz .LBB10_25
.LBB10_26:
	s_wait_xcnt 0x0
	s_or_b32 exec_lo, exec_lo, s4
	s_and_saveexec_b32 s4, s2
	s_cbranch_execz .LBB10_29
; %bb.27:
	v_add_nc_u64_e32 v[6:7], v[4:5], v[10:11]
	s_mov_b32 vcc_lo, 0
	s_delay_alu instid0(VALU_DEP_1)
	v_add_nc_u64_e32 v[4:5], v[6:7], v[2:3]
	v_add_nc_u64_e32 v[6:7], v[6:7], v[0:1]
.LBB10_28:                              ; =>This Inner Loop Header: Depth=1
	global_load_b128 v[8:11], v[6:7], off th:TH_LOAD_NT
	s_wait_loadcnt 0x0
	global_store_b128 v[4:5], v[8:11], off th:TH_STORE_NT
	s_cbranch_vccz .LBB10_28
.LBB10_29:
	s_wait_xcnt 0x0
	s_or_b32 exec_lo, exec_lo, s4
	s_and_saveexec_b32 s2, s3
	s_delay_alu instid0(SALU_CYCLE_1)
	s_xor_b32 s2, exec_lo, s2
	s_cbranch_execz .LBB10_32
; %bb.30:
	v_bfe_i32 v4, v20, 0, 16
	v_lshlrev_b32_e32 v5, 4, v15
	s_mov_b32 vcc_lo, 0
	s_delay_alu instid0(VALU_DEP_1) | instskip(NEXT) | instid1(VALU_DEP_1)
	v_lshl_add_u32 v4, v4, 11, v5
	v_ashrrev_i32_e32 v5, 31, v4
	s_delay_alu instid0(VALU_DEP_1)
	v_add_nc_u64_e32 v[2:3], v[2:3], v[4:5]
	v_add_nc_u64_e32 v[0:1], v[0:1], v[4:5]
.LBB10_31:                              ; =>This Inner Loop Header: Depth=1
	s_clause 0x3
	global_load_b128 v[4:7], v[0:1], off th:TH_LOAD_NT
	global_load_b128 v[8:11], v[0:1], off offset:512 th:TH_LOAD_NT
	global_load_b128 v[12:15], v[0:1], off offset:1024 th:TH_LOAD_NT
	;; [unrolled: 1-line block ×3, first 2 shown]
	s_wait_loadcnt 0x3
	global_store_b128 v[2:3], v[4:7], off th:TH_STORE_NT
	s_wait_loadcnt 0x2
	global_store_b128 v[2:3], v[8:11], off offset:512 th:TH_STORE_NT
	s_wait_loadcnt 0x1
	global_store_b128 v[2:3], v[12:15], off offset:1024 th:TH_STORE_NT
	;; [unrolled: 2-line block ×3, first 2 shown]
	s_cbranch_vccz .LBB10_31
.LBB10_32:
	s_wait_xcnt 0x0
	s_or_b32 exec_lo, exec_lo, s1
                                        ; implicit-def: $vgpr6_vgpr7
                                        ; implicit-def: $vgpr16_vgpr17
                                        ; implicit-def: $vgpr38_vgpr39
                                        ; implicit-def: $vgpr20_vgpr21
                                        ; implicit-def: $vgpr0
                                        ; implicit-def: $vgpr1
                                        ; implicit-def: $vgpr18_vgpr19
                                        ; implicit-def: $vgpr31
                                        ; implicit-def: $vgpr10_vgpr11
                                        ; implicit-def: $vgpr2_vgpr3
.LBB10_33:
	s_and_not1_saveexec_b32 s21, s0
	s_cbranch_execz .LBB10_1048
; %bb.34:
	s_trap 2
	ds_load_b64 v[4:5], v0
	s_mov_b32 s1, 0
	s_mov_b32 s2, exec_lo
	s_wait_dscnt 0x0
	v_cmp_ne_u32_e32 vcc_lo, -1, v4
	v_cndmask_b32_e64 v48, 0, 1, vcc_lo
	v_cmp_ne_u32_e32 vcc_lo, -1, v5
	s_delay_alu instid0(VALU_DEP_2) | instskip(NEXT) | instid1(VALU_DEP_1)
	v_add_co_ci_u32_e64 v14, null, 0, v48, vcc_lo
	v_lshlrev_b32_e32 v4, 1, v14
	s_delay_alu instid0(VALU_DEP_1)
	v_cmpx_le_u32_e64 v4, v1
	s_xor_b32 s19, exec_lo, s2
	s_cbranch_execz .LBB10_1045
; %bb.35:
	s_clause 0x2
	flat_load_b64 v[4:5], v[2:3] offset:104
	flat_load_u16 v13, v[2:3] offset:8
	flat_load_b32 v12, v[2:3] offset:4
	s_trap 2
	s_load_b32 s0, s[8:9], 0x0
	s_bfe_u32 s2, ttmp6, 0x4000c
	s_and_b32 s3, ttmp6, 15
	s_add_co_i32 s2, s2, 1
	s_getreg_b32 s4, hwreg(HW_REG_IB_STS2, 6, 4)
	s_mul_i32 s2, ttmp9, s2
	v_dual_mov_b32 v15, 0 :: v_dual_mov_b32 v30, 4
	s_add_co_i32 s3, s3, s2
	s_cmp_eq_u32 s4, 0
	s_cselect_b32 s2, ttmp9, s3
	s_wait_kmcnt 0x0
	s_cmp_lt_u32 s2, s0
	s_cselect_b32 s0, 12, 18
	s_delay_alu instid0(SALU_CYCLE_1)
	s_add_nc_u64 s[0:1], s[8:9], s[0:1]
	global_load_u16 v29, v15, s[0:1]
	s_wait_xcnt 0x0
	ds_load_b32 v15, v0
	s_mov_b32 s1, exec_lo
	s_wait_dscnt 0x0
	v_readfirstlane_b32 s5, v15
	v_cmpx_ge_i32_e64 v0, v48
	s_cbranch_execz .LBB10_45
; %bb.36:
	v_cmp_ge_u32_e64 s0, v0, v14
                                        ; implicit-def: $vgpr30
	s_and_saveexec_b32 s2, s0
	s_delay_alu instid0(SALU_CYCLE_1)
	s_xor_b32 s0, exec_lo, s2
	s_cbranch_execz .LBB10_42
; %bb.37:
	v_cndmask_b32_e64 v15, 0, 1, vcc_lo
	s_mov_b32 s2, exec_lo
	s_delay_alu instid0(VALU_DEP_1) | instskip(NEXT) | instid1(VALU_DEP_1)
	v_sub_nc_u32_e32 v15, v1, v15
	v_cmpx_ge_u32_e64 v0, v15
	s_xor_b32 s2, exec_lo, s2
; %bb.38:
                                        ; implicit-def: $vgpr14
; %bb.39:
	s_delay_alu instid0(SALU_CYCLE_1)
	s_or_saveexec_b32 s2, s2
	v_mov_b32_e32 v30, 16
	s_xor_b32 exec_lo, exec_lo, s2
; %bb.40:
	v_sub_nc_u32_e32 v14, v1, v14
	s_delay_alu instid0(VALU_DEP_1)
	v_cmp_lt_i32_e32 vcc_lo, v0, v14
	v_cndmask_b32_e64 v30, 32, 0, vcc_lo
; %bb.41:
	s_or_b32 exec_lo, exec_lo, s2
.LBB10_42:
	s_and_not1_saveexec_b32 s0, s0
; %bb.43:
	v_mov_b32_e32 v30, 8
; %bb.44:
	s_or_b32 exec_lo, exec_lo, s0
.LBB10_45:
	s_delay_alu instid0(SALU_CYCLE_1) | instskip(NEXT) | instid1(VALU_DEP_1)
	s_or_b32 exec_lo, exec_lo, s1
	v_dual_mov_b32 v39, -1 :: v_dual_bitop2_b32 v14, 36, v30 bitop3:0x40
	s_delay_alu instid0(VALU_DEP_1)
	v_cmp_ne_u32_e32 vcc_lo, 0, v14
	s_and_saveexec_b32 s0, vcc_lo
	s_cbranch_execz .LBB10_47
; %bb.46:
	s_trap 2
	ds_load_b32 v39, v0
.LBB10_47:
	s_or_b32 exec_lo, exec_lo, s0
	v_and_b32_e32 v14, 24, v30
	s_mov_b32 s1, exec_lo
	s_delay_alu instid0(VALU_DEP_1)
	v_cmpx_ne_u32_e32 0, v14
	s_cbranch_execz .LBB10_49
; %bb.48:
	s_trap 2
	s_wait_dscnt 0x0
	ds_load_b32 v39, v0
.LBB10_49:
	s_or_b32 exec_lo, exec_lo, s1
	s_wait_loadcnt 0x1
	v_lshrrev_b64 v[14:15], 31, v[12:13]
	v_mov_b64_e32 v[24:25], 0
	v_mov_b64_e32 v[12:13], 0
                                        ; implicit-def: $vgpr22_vgpr23
                                        ; implicit-def: $vgpr28
                                        ; implicit-def: $vgpr100_vgpr101
                                        ; implicit-def: $vgpr32_vgpr33
                                        ; implicit-def: $vgpr36_vgpr37
                                        ; implicit-def: $vgpr26_vgpr27
	s_delay_alu instid0(VALU_DEP_3)
	v_and_b32_e32 v49, 3, v14
	s_and_saveexec_b32 s0, vcc_lo
	s_cbranch_execz .LBB10_59
; %bb.50:
	s_trap 2
	ds_load_b64 v[12:13], v0
	v_and_b32_e32 v14, 0xffff, v49
	s_mov_b32 s1, exec_lo
                                        ; implicit-def: $vgpr22_vgpr23
	s_wait_dscnt 0x0
	v_readfirstlane_b32 s2, v12
	v_readfirstlane_b32 s3, v13
	flat_load_b64 v[12:13], v39, s[2:3] scale_offset
	s_wait_loadcnt_dscnt 0x0
	v_mad_nc_u64_u32 v[14:15], 0xa8, v14, v[12:13]
	flat_load_b32 v12, v[14:15] offset:640
	s_wait_loadcnt_dscnt 0x0
	v_cmpx_eq_u32_e32 1, v12
	s_cbranch_execz .LBB10_52
; %bb.51:
	flat_load_b64 v[22:23], v[14:15] offset:648
	v_or_b32_e32 v30, 0x2000, v30
	s_wait_loadcnt_dscnt 0x0
	flat_load_b64 v[12:13], v[22:23]
	s_trap 2
	s_wait_loadcnt_dscnt 0x0
	ds_store_b64 v0, v[12:13]
	flat_load_b64 v[12:13], v[22:23] offset:8
	s_wait_loadcnt_dscnt 0x0
	ds_store_b64 v0, v[12:13]
	flat_load_b64 v[12:13], v[22:23] offset:16
	s_wait_loadcnt_dscnt 0x0
	ds_store_b64 v0, v[12:13]
.LBB10_52:
	s_wait_xcnt 0x0
	s_or_b32 exec_lo, exec_lo, s1
	flat_load_b64 v[12:13], v[14:15] offset:608
	s_mov_b32 s1, exec_lo
                                        ; implicit-def: $vgpr26_vgpr27
	s_wait_loadcnt_dscnt 0x0
	v_add_nc_u64_e32 v[100:101], 3, v[12:13]
	v_and_b32_e32 v12, 32, v30
	s_delay_alu instid0(VALU_DEP_2) | instskip(SKIP_1) | instid1(VALU_DEP_2)
	v_and_b32_e32 v100, -4, v100
	s_wait_xcnt 0x0
	v_cmpx_ne_u32_e32 0, v12
	s_cbranch_execz .LBB10_54
; %bb.53:
	flat_load_b64 v[26:27], v[14:15] offset:560
	global_wb scope:SCOPE_SYS
	s_wait_storecnt 0x0
	s_wait_xcnt 0x0
	s_wait_loadcnt_dscnt 0x0
	flat_store_b64 v[26:27], v[100:101] scope:SCOPE_SYS
.LBB10_54:
	s_wait_xcnt 0x0
	s_or_b32 exec_lo, exec_lo, s1
	v_and_b32_e32 v28, 4, v30
	v_add_nc_u64_e32 v[24:25], 0x1f8, v[14:15]
	v_mov_b64_e32 v[12:13], 0
                                        ; implicit-def: $vgpr32_vgpr33
                                        ; implicit-def: $vgpr36_vgpr37
	s_delay_alu instid0(VALU_DEP_3)
	v_cmp_ne_u32_e32 vcc_lo, 0, v28
                                        ; implicit-def: $vgpr28
	s_and_saveexec_b32 s1, vcc_lo
	s_cbranch_execz .LBB10_58
; %bb.55:
	v_and_b32_e32 v12, 0x800, v30
	s_mov_b32 s2, exec_lo
	s_delay_alu instid0(VALU_DEP_1)
	v_cmpx_eq_u32_e32 0, v12
	s_cbranch_execz .LBB10_57
; %bb.56:
	s_trap 2
	ds_store_b64 v0, v[24:25]
.LBB10_57:
	s_or_b32 exec_lo, exec_lo, s2
	flat_load_b64 v[26:27], v[14:15] offset:552
	s_wait_loadcnt_dscnt 0x0
	flat_load_b64 v[36:37], v[26:27] scope:SCOPE_SYS
	s_clause 0x2
	flat_load_b64 v[12:13], v[14:15] offset:600
	flat_load_b32 v28, v[14:15] offset:576
	flat_load_b64 v[32:33], v[14:15] offset:520
	s_wait_xcnt 0x0
	v_or_b32_e32 v14, 0x100, v30
	s_wait_loadcnt_dscnt 0x202
	v_cmp_eq_u64_e32 vcc_lo, 0, v[12:13]
	s_delay_alu instid0(VALU_DEP_2)
	v_cndmask_b32_e32 v30, v14, v30, vcc_lo
.LBB10_58:
	s_or_b32 exec_lo, exec_lo, s1
.LBB10_59:
	s_delay_alu instid0(SALU_CYCLE_1) | instskip(NEXT) | instid1(VALU_DEP_1)
	s_or_b32 exec_lo, exec_lo, s0
	v_and_b32_e32 v14, 24, v30
	s_mov_b32 s0, exec_lo
                                        ; implicit-def: $vgpr34_vgpr35
	s_delay_alu instid0(VALU_DEP_1)
	v_cmpx_ne_u32_e32 0, v14
	s_cbranch_execz .LBB10_67
; %bb.60:
	s_trap 2
	ds_load_b64 v[12:13], v0
	v_and_b32_e32 v14, 0xffff, v49
	v_or_b32_e32 v34, 0x100, v30
	s_wait_dscnt 0x0
	v_readfirstlane_b32 s2, v12
	v_readfirstlane_b32 s3, v13
	flat_load_b64 v[12:13], v39, s[2:3] scale_offset
	s_wait_loadcnt_dscnt 0x0
	v_mad_nc_u64_u32 v[24:25], 0xa8, v14, v[12:13]
	flat_load_b128 v[12:15], v[24:25] offset:96
	s_wait_loadcnt_dscnt 0x0
	v_cmp_eq_u64_e32 vcc_lo, 0, v[12:13]
	v_cndmask_b32_e32 v30, v34, v30, vcc_lo
	s_delay_alu instid0(VALU_DEP_1) | instskip(NEXT) | instid1(VALU_DEP_1)
	v_and_b32_e32 v34, 16, v30
	v_cmp_ne_u32_e32 vcc_lo, 0, v34
                                        ; implicit-def: $vgpr34_vgpr35
	s_wait_xcnt 0x0
	s_and_saveexec_b32 s1, vcc_lo
	s_cbranch_execz .LBB10_62
; %bb.61:
	s_clause 0x2
	flat_load_b64 v[26:27], v[24:25] offset:48
	flat_load_b64 v[34:35], v[24:25] offset:120
	flat_load_b64 v[32:33], v[24:25] offset:16
.LBB10_62:
	s_wait_xcnt 0x0
	s_or_b32 exec_lo, exec_lo, s1
	v_add_nc_u64_e32 v[100:101], 3, v[14:15]
	v_and_b32_e32 v14, 8, v30
	s_mov_b32 s1, exec_lo
	s_delay_alu instid0(VALU_DEP_2) | instskip(NEXT) | instid1(VALU_DEP_2)
	v_and_b32_e32 v100, -4, v100
	v_cmpx_ne_u32_e32 0, v14
	s_cbranch_execz .LBB10_66
; %bb.63:
	v_and_b32_e32 v14, 0x800, v30
	s_mov_b32 s2, exec_lo
	s_delay_alu instid0(VALU_DEP_1)
	v_cmpx_eq_u32_e32 0, v14
	s_cbranch_execz .LBB10_65
; %bb.64:
	s_trap 2
	ds_store_b64 v0, v[24:25]
.LBB10_65:
	s_or_b32 exec_lo, exec_lo, s2
	s_wait_loadcnt_dscnt 0x202
	flat_load_b64 v[26:27], v[24:25] offset:56
	s_wait_loadcnt_dscnt 0x0
	flat_load_b64 v[36:37], v[26:27] scope:SCOPE_SYS
	s_clause 0x1
	flat_load_b32 v28, v[24:25] offset:72
	flat_load_b64 v[32:33], v[24:25] offset:16
.LBB10_66:
	s_wait_xcnt 0x0
	s_or_b32 exec_lo, exec_lo, s1
.LBB10_67:
	s_delay_alu instid0(SALU_CYCLE_1)
	s_or_b32 exec_lo, exec_lo, s0
	v_cmp_eq_u32_e64 s0, 0, v0
	s_and_saveexec_b32 s1, s0
	s_cbranch_execz .LBB10_69
; %bb.68:
	flat_load_b64 v[14:15], v[2:3] offset:32
	v_dual_mov_b32 v50, v10 :: v_dual_mov_b32 v51, v11
	v_dual_mov_b32 v52, v8 :: v_dual_mov_b32 v53, v9
	ds_store_2addr_b64 v0, v[50:51], v[52:53] offset1:1
	s_trap 2
	s_wait_loadcnt_dscnt 0x1
	ds_store_b64 v0, v[14:15]
	ds_store_b64 v0, v[4:5]
.LBB10_69:
	s_wait_xcnt 0x0
	s_or_b32 exec_lo, exec_lo, s1
	v_mov_b64_e32 v[14:15], 0
	s_wait_loadcnt 0x0
	v_and_b32_e32 v58, 0xffff, v29
	s_mov_b32 s20, exec_lo
	v_cmpx_ne_u64_e32 0, v[6:7]
	s_cbranch_execz .LBB10_1011
; %bb.70:
	flat_load_b32 v85, v[2:3] offset:4
	s_wait_xcnt 0x0
	v_cvt_f64_u32_e32 v[2:3], 0
	v_dual_mov_b32 v49, 0 :: v_dual_lshlrev_b32 v4, 9, v38
	s_ashr_i32 s6, s5, 31
	s_wait_dscnt 0x2
	v_dual_ashrrev_i32 v29, 31, v28 :: v_dual_lshrrev_b32 v50, 5, v1
	s_delay_alu instid0(VALU_DEP_2)
	v_and_b32_e32 v38, 0x3ffffe00, v4
	s_lshr_b32 s6, s6, 25
	v_and_b32_e32 v59, 0x1fe0, v1
	s_add_co_i32 s6, s5, s6
	v_dual_mov_b32 v69, v49 :: v_dual_lshlrev_b32 v68, 9, v50
	v_cvt_f64_u32_e32 v[4:5], v38
	s_delay_alu instid0(VALU_DEP_3) | instskip(SKIP_1) | instid1(VALU_DEP_4)
	v_subrev_nc_u32_e32 v70, 32, v59
	v_cmp_eq_u32_e32 vcc_lo, 32, v1
	v_add_nc_u32_e32 v82, 0xfffffe00, v68
	v_mov_b64_e32 v[52:53], 0
	v_cmp_eq_u64_e64 s3, 0, v[34:35]
	v_cmp_ne_u64_e64 s4, 0, v[34:35]
	v_mov_b64_e32 v[54:55], 0
	v_ashrrev_i32_e32 v83, 31, v82
	v_mov_b64_e32 v[14:15], 0
	v_cmp_ne_u32_e64 s1, 32, v1
	v_cmp_ne_u32_e64 s2, v1, v58
	s_wait_dscnt 0x1
	v_dual_mov_b32 v39, v49 :: v_dual_mov_b32 v51, v49
	v_add_nc_u64_e32 v[96:97], 0x200, v[82:83]
	v_dual_mov_b32 v65, v49 :: v_dual_lshlrev_b32 v64, 10, v50
	v_dual_mov_b32 v81, v49 :: v_dual_lshlrev_b32 v80, 11, v50
	s_ashr_i32 s23, s6, 7
	v_ldexp_f64 v[2:3], v[2:3], 32
	s_cmp_gt_i32 s18, 2
	s_mov_b32 s22, 0
	s_cselect_b32 s24, -1, 0
	s_add_co_i32 s25, s18, -2
	s_xor_b32 s27, vcc_lo, -1
	s_trap 2
	s_delay_alu instid0(VALU_DEP_1) | instskip(SKIP_2) | instid1(VALU_DEP_2)
	v_dual_add_f64 v[2:3], v[2:3], v[4:5] :: v_dual_mov_b32 v60, 1
	v_dual_ashrrev_i32 v5, 31, v0 :: v_dual_bitop2_b32 v4, 31, v31 bitop3:0x40
	v_mov_b32_e32 v61, 0x88
	v_cmp_eq_u32_e64 s5, 0, v4
	s_delay_alu instid0(VALU_DEP_3) | instskip(NEXT) | instid1(VALU_DEP_1)
	v_dual_max_num_f64 v[66:67], v[2:3], v[2:3] :: v_dual_lshrrev_b32 v4, 27, v5
	v_add_nc_u32_e32 v2, v0, v4
	s_delay_alu instid0(VALU_DEP_1) | instskip(NEXT) | instid1(VALU_DEP_1)
	v_and_b32_e32 v3, 0xffffffe0, v2
	v_dual_ashrrev_i32 v62, 5, v2 :: v_dual_sub_nc_u32 v63, v0, v3
	s_delay_alu instid0(VALU_DEP_1) | instskip(NEXT) | instid1(VALU_DEP_2)
	v_lshlrev_b32_e32 v2, 10, v62
	v_cmp_gt_i32_e64 s6, 1, v63
	v_cmp_le_i32_e64 s7, v63, v48
	v_cmp_lt_i32_e64 s11, v63, v48
	s_wait_loadcnt_dscnt 0x0
	v_and_b32_e32 v3, 1, v85
	v_lshl_add_u32 v84, v63, 4, v2
	v_ashrrev_i32_e32 v71, 31, v70
	s_delay_alu instid0(VALU_DEP_3) | instskip(NEXT) | instid1(VALU_DEP_3)
	v_cmp_eq_u32_e64 s10, 1, v3
	v_dual_add_nc_u32 v98, v84, v2 :: v_dual_ashrrev_i32 v85, 31, v84
	s_delay_alu instid0(VALU_DEP_3) | instskip(SKIP_1) | instid1(VALU_DEP_2)
	v_add_nc_u64_e32 v[86:87], 32, v[70:71]
	s_xor_b32 s26, s10, -1
	v_ashrrev_i32_e32 v99, 31, v98
	s_branch .LBB10_73
.LBB10_71:                              ;   in Loop: Header=BB10_73 Depth=1
	s_or_b32 exec_lo, exec_lo, s14
.LBB10_72:                              ;   in Loop: Header=BB10_73 Depth=1
	s_delay_alu instid0(SALU_CYCLE_1) | instskip(SKIP_1) | instid1(VALU_DEP_1)
	s_or_b32 exec_lo, exec_lo, s13
	v_add_nc_u64_e32 v[54:55], v[54:55], v[38:39]
	v_cmp_ge_u64_e32 vcc_lo, v[54:55], v[6:7]
	s_or_b32 s22, vcc_lo, s22
	s_delay_alu instid0(SALU_CYCLE_1)
	s_and_not1_b32 exec_lo, exec_lo, s22
	s_cbranch_execz .LBB10_1010
.LBB10_73:                              ; =>This Loop Header: Depth=1
                                        ;     Child Loop BB10_78 Depth 2
                                        ;       Child Loop BB10_86 Depth 3
                                        ;       Child Loop BB10_110 Depth 3
	;; [unrolled: 1-line block ×5, first 2 shown]
                                        ;         Child Loop BB10_162 Depth 4
                                        ;       Child Loop BB10_171 Depth 3
                                        ;       Child Loop BB10_176 Depth 3
                                        ;         Child Loop BB10_177 Depth 4
                                        ;       Child Loop BB10_189 Depth 3
                                        ;       Child Loop BB10_194 Depth 3
	;; [unrolled: 1-line block ×6, first 2 shown]
                                        ;     Child Loop BB10_397 Depth 2
                                        ;       Child Loop BB10_403 Depth 3
                                        ;       Child Loop BB10_427 Depth 3
	;; [unrolled: 1-line block ×3, first 2 shown]
                                        ;     Child Loop BB10_255 Depth 2
                                        ;       Child Loop BB10_263 Depth 3
                                        ;       Child Loop BB10_287 Depth 3
	;; [unrolled: 1-line block ×9, first 2 shown]
                                        ;     Child Loop BB10_469 Depth 2
                                        ;       Child Loop BB10_475 Depth 3
                                        ;       Child Loop BB10_499 Depth 3
	;; [unrolled: 1-line block ×3, first 2 shown]
                                        ;     Child Loop BB10_542 Depth 2
                                        ;       Child Loop BB10_545 Depth 3
                                        ;         Child Loop BB10_553 Depth 4
                                        ;         Child Loop BB10_581 Depth 4
	;; [unrolled: 1-line block ×5, first 2 shown]
                                        ;           Child Loop BB10_633 Depth 5
                                        ;         Child Loop BB10_642 Depth 4
                                        ;         Child Loop BB10_647 Depth 4
                                        ;           Child Loop BB10_648 Depth 5
                                        ;         Child Loop BB10_660 Depth 4
                                        ;         Child Loop BB10_665 Depth 4
	;; [unrolled: 1-line block ×6, first 2 shown]
                                        ;       Child Loop BB10_726 Depth 3
                                        ;         Child Loop BB10_732 Depth 4
                                        ;         Child Loop BB10_760 Depth 4
	;; [unrolled: 1-line block ×3, first 2 shown]
                                        ;     Child Loop BB10_804 Depth 2
                                        ;       Child Loop BB10_812 Depth 3
                                        ;       Child Loop BB10_836 Depth 3
	;; [unrolled: 1-line block ×9, first 2 shown]
                                        ;     Child Loop BB10_944 Depth 2
                                        ;       Child Loop BB10_950 Depth 3
                                        ;       Child Loop BB10_974 Depth 3
	;; [unrolled: 1-line block ×3, first 2 shown]
	v_sub_nc_u64_e32 v[2:3], v[6:7], v[54:55]
	v_add_nc_u64_e32 v[102:103], v[54:55], v[16:17]
	s_delay_alu instid0(VALU_DEP_2) | instskip(NEXT) | instid1(VALU_DEP_3)
	v_cvt_f64_u32_e32 v[4:5], v3
	v_cvt_f64_u32_e32 v[2:3], v2
	s_delay_alu instid0(VALU_DEP_2) | instskip(NEXT) | instid1(VALU_DEP_1)
	v_ldexp_f64 v[4:5], v[4:5], 32
	v_add_f64_e32 v[2:3], v[4:5], v[2:3]
	s_delay_alu instid0(VALU_DEP_1) | instskip(NEXT) | instid1(VALU_DEP_1)
	v_min_num_f64_e32 v[2:3], v[66:67], v[2:3]
	v_cvt_i32_f64_e32 v48, v[2:3]
	flat_load_b32 v2, v[18:19]
	v_max_i32_e32 v72, 0, v48
	v_cmp_lt_i32_e64 s12, 0, v48
	s_wait_loadcnt_dscnt 0x0
	v_mad_nc_u64_u32 v[116:117], v20, v2, v[102:103]
	v_ashrrev_i32_e32 v3, 31, v2
	s_delay_alu instid0(VALU_DEP_2) | instskip(NEXT) | instid1(VALU_DEP_1)
	v_mad_u32 v2, v21, v2, v117
	v_mad_u32 v117, v20, v3, v2
	v_add_nc_u64_e32 v[2:3], v[10:11], v[102:103]
	s_delay_alu instid0(VALU_DEP_2) | instskip(NEXT) | instid1(VALU_DEP_1)
	v_add_nc_u64_e32 v[4:5], v[8:9], v[116:117]
	v_cmp_ne_u64_e32 vcc_lo, v[2:3], v[4:5]
	v_add_nc_u32_e32 v2, 31, v72
	s_delay_alu instid0(VALU_DEP_1) | instskip(NEXT) | instid1(VALU_DEP_1)
	v_ashrrev_i32_e32 v3, 31, v2
	v_lshrrev_b32_e32 v3, 27, v3
	s_delay_alu instid0(VALU_DEP_1) | instskip(NEXT) | instid1(VALU_DEP_1)
	v_add_nc_u32_e32 v2, v2, v3
	v_ashrrev_i32_e32 v2, 5, v2
	s_delay_alu instid0(VALU_DEP_1) | instskip(NEXT) | instid1(VALU_DEP_1)
	v_lshlrev_b32_e32 v2, 4, v2
	v_max_i32_e32 v73, s23, v2
	s_wait_xcnt 0x0
	s_and_saveexec_b32 s13, vcc_lo
	s_delay_alu instid0(SALU_CYCLE_1)
	s_xor_b32 s28, exec_lo, s13
	s_cbranch_execz .LBB10_250
; %bb.74:                               ;   in Loop: Header=BB10_73 Depth=1
	v_dual_mov_b32 v2, 0 :: v_dual_mov_b32 v114, v73
	v_mov_b32_e32 v112, 0
	s_and_saveexec_b32 s29, s12
	s_cbranch_execz .LBB10_393
; %bb.75:                               ;   in Loop: Header=BB10_73 Depth=1
	v_dual_mov_b32 v112, 0 :: v_dual_mov_b32 v114, v73
	s_mov_b32 s42, 1
	s_mov_b32 s41, -1
	s_mov_b32 s40, 0
	s_branch .LBB10_78
.LBB10_76:                              ;   in Loop: Header=BB10_78 Depth=2
	s_wait_xcnt 0x0
	s_or_b32 exec_lo, exec_lo, s14
	v_add_nc_u64_e32 v[100:101], 2, v[100:101]
	global_wb scope:SCOPE_SYS
	s_wait_storecnt 0x0
	s_wait_loadcnt_dscnt 0x0
	flat_store_b64 v[26:27], v[100:101] scope:SCOPE_SYS
.LBB10_77:                              ;   in Loop: Header=BB10_78 Depth=2
	s_wait_xcnt 0x0
	s_or_b32 exec_lo, exec_lo, s13
	v_dual_add_nc_u32 v112, v114, v112 :: v_dual_mov_b32 v2, s42
	s_xor_b32 s13, s41, -1
	s_mov_b32 s41, 0
	s_mov_b32 s42, 2
	s_delay_alu instid0(VALU_DEP_1) | instskip(SKIP_1) | instid1(SALU_CYCLE_1)
	v_cmp_ge_i32_e32 vcc_lo, v112, v72
	s_or_b32 s13, s13, vcc_lo
	s_and_b32 s13, exec_lo, s13
	s_delay_alu instid0(SALU_CYCLE_1) | instskip(NEXT) | instid1(SALU_CYCLE_1)
	s_or_b32 s40, s13, s40
	s_and_not1_b32 exec_lo, exec_lo, s40
	s_cbranch_execz .LBB10_392
.LBB10_78:                              ;   Parent Loop BB10_73 Depth=1
                                        ; =>  This Loop Header: Depth=2
                                        ;       Child Loop BB10_86 Depth 3
                                        ;       Child Loop BB10_110 Depth 3
	;; [unrolled: 1-line block ×5, first 2 shown]
                                        ;         Child Loop BB10_162 Depth 4
                                        ;       Child Loop BB10_171 Depth 3
                                        ;       Child Loop BB10_176 Depth 3
                                        ;         Child Loop BB10_177 Depth 4
                                        ;       Child Loop BB10_189 Depth 3
                                        ;       Child Loop BB10_194 Depth 3
                                        ;       Child Loop BB10_202 Depth 3
                                        ;       Child Loop BB10_207 Depth 3
                                        ;       Child Loop BB10_217 Depth 3
                                        ;       Child Loop BB10_236 Depth 3
	s_and_saveexec_b32 s13, s0
	s_cbranch_execz .LBB10_80
; %bb.79:                               ;   in Loop: Header=BB10_78 Depth=2
	s_trap 2
	ds_load_b64 v[118:119], v0
	ds_load_2addr_b64 v[2:5], v0 offset1:1
	s_wait_dscnt 0x1
	v_add_nc_u64_e32 v[40:41], v[118:119], v[116:117]
	v_cmp_ne_u64_e32 vcc_lo, 0, v[118:119]
	v_ashrrev_i32_e32 v113, 31, v112
	s_wait_dscnt 0x0
	v_add_nc_u64_e32 v[2:3], v[2:3], v[102:103]
	v_add_nc_u64_e32 v[4:5], v[4:5], v[116:117]
	s_delay_alu instid0(VALU_DEP_3) | instskip(NEXT) | instid1(VALU_DEP_1)
	v_add_nc_u64_e32 v[40:41], v[40:41], v[112:113]
	v_cndmask_b32_e32 v119, 0, v41, vcc_lo
	s_delay_alu instid0(VALU_DEP_4) | instskip(NEXT) | instid1(VALU_DEP_4)
	v_add_nc_u64_e32 v[2:3], v[2:3], v[112:113]
	v_add_nc_u64_e32 v[4:5], v[4:5], v[112:113]
	s_delay_alu instid0(VALU_DEP_4)
	v_cndmask_b32_e32 v118, 0, v40, vcc_lo
	ds_store_b64 v0, v[2:3]
	ds_store_b64 v0, v[4:5]
	;; [unrolled: 1-line block ×3, first 2 shown]
.LBB10_80:                              ;   in Loop: Header=BB10_78 Depth=2
	s_or_b32 exec_lo, exec_lo, s13
	v_dual_sub_nc_u32 v2, v72, v112 :: v_dual_bitop2_b32 v3, 8, v30 bitop3:0x40
	s_mov_b32 s14, exec_lo
	s_delay_alu instid0(VALU_DEP_1) | instskip(NEXT) | instid1(VALU_DEP_2)
	v_min_i32_e32 v114, v114, v2
	v_cmpx_ne_u32_e32 0, v3
	s_cbranch_execz .LBB10_102
; %bb.81:                               ;   in Loop: Header=BB10_78 Depth=2
	s_wait_loadcnt 0x0
	v_add_nc_u64_e32 v[4:5], 8, v[36:37]
	v_add_nc_u64_e32 v[2:3], 2, v[100:101]
	s_mov_b32 s15, exec_lo
	s_delay_alu instid0(VALU_DEP_1)
	v_cmpx_lt_u64_e64 v[4:5], v[2:3]
	s_cbranch_execz .LBB10_93
; %bb.82:                               ;   in Loop: Header=BB10_78 Depth=2
	v_and_b32_e32 v4, 64, v30
	s_mov_b32 s16, 0
	s_mov_b32 s45, 0
                                        ; implicit-def: $sgpr17
                                        ; implicit-def: $sgpr43
                                        ; implicit-def: $sgpr44
	s_delay_alu instid0(VALU_DEP_1)
	v_cmp_eq_u32_e32 vcc_lo, 0, v4
	s_branch .LBB10_86
.LBB10_83:                              ;   in Loop: Header=BB10_86 Depth=3
	s_wait_loadcnt_dscnt 0x0
	v_add_nc_u64_e32 v[118:119], 8, v[36:37]
	s_or_b32 s56, s56, exec_lo
	s_delay_alu instid0(VALU_DEP_1)
	v_cmp_ge_u64_e64 s13, v[118:119], v[2:3]
	s_or_not1_b32 s47, s13, exec_lo
.LBB10_84:                              ;   in Loop: Header=BB10_86 Depth=3
	s_or_b32 exec_lo, exec_lo, s58
	s_delay_alu instid0(SALU_CYCLE_1)
	s_and_not1_b32 s13, s44, exec_lo
	s_and_b32 s44, s56, exec_lo
	s_and_not1_b32 s43, s43, exec_lo
	s_and_b32 s47, s47, exec_lo
	s_or_b32 s44, s13, s44
	s_or_b32 s43, s43, s47
.LBB10_85:                              ;   in Loop: Header=BB10_86 Depth=3
	s_or_b32 exec_lo, exec_lo, s46
	s_delay_alu instid0(SALU_CYCLE_1) | instskip(NEXT) | instid1(SALU_CYCLE_1)
	s_and_b32 s13, exec_lo, s43
	s_or_b32 s16, s13, s16
	s_and_not1_b32 s13, s17, exec_lo
	s_and_b32 s17, s44, exec_lo
	s_delay_alu instid0(SALU_CYCLE_1)
	s_or_b32 s17, s13, s17
	s_and_not1_b32 exec_lo, exec_lo, s16
	s_cbranch_execz .LBB10_90
.LBB10_86:                              ;   Parent Loop BB10_73 Depth=1
                                        ;     Parent Loop BB10_78 Depth=2
                                        ; =>    This Inner Loop Header: Depth=3
	s_sleep 1
	s_wait_loadcnt_dscnt 0x0
	flat_load_b64 v[36:37], v[26:27] scope:SCOPE_SYS
	s_or_b32 s44, s44, exec_lo
	s_or_b32 s43, s43, exec_lo
                                        ; implicit-def: $vgpr4
	s_wait_xcnt 0x0
	s_and_saveexec_b32 s46, vcc_lo
	s_cbranch_execz .LBB10_85
; %bb.87:                               ;   in Loop: Header=BB10_86 Depth=3
	s_cmp_lt_i32 s45, 0x270f
	s_mov_b32 s47, -1
	s_cselect_b32 s57, -1, 0
	s_cmp_gt_i32 s45, 0x270e
	s_cbranch_scc0 .LBB10_89
; %bb.88:                               ;   in Loop: Header=BB10_86 Depth=3
	s_trap 2
	ds_load_b64 v[4:5], v0
	s_and_not1_b32 s45, s57, exec_lo
	s_mov_b32 s56, 0
	s_wait_storecnt 0x0
	s_wait_loadcnt_dscnt 0x0
	flat_load_b32 v4, v[4:5] scope:SCOPE_SYS
	s_wait_loadcnt_dscnt 0x0
	global_inv scope:SCOPE_SYS
	v_cmp_eq_u32_e64 s13, 0, v4
	s_and_b32 s13, s13, exec_lo
	s_delay_alu instid0(SALU_CYCLE_1)
	s_or_b32 s57, s45, s13
	s_mov_b32 s45, 0
	s_and_saveexec_b32 s58, s57
	s_cbranch_execz .LBB10_84
	s_branch .LBB10_83
.LBB10_89:                              ;   in Loop: Header=BB10_86 Depth=3
	s_add_co_i32 s45, s45, 1
	s_mov_b32 s56, -1
                                        ; implicit-def: $vgpr4
	s_and_saveexec_b32 s58, s57
	s_cbranch_execz .LBB10_84
	s_branch .LBB10_83
.LBB10_90:                              ;   in Loop: Header=BB10_78 Depth=2
	s_or_b32 exec_lo, exec_lo, s16
	s_xor_b32 s13, s17, -1
	s_delay_alu instid0(SALU_CYCLE_1) | instskip(NEXT) | instid1(SALU_CYCLE_1)
	s_and_saveexec_b32 s16, s13
	s_xor_b32 s13, exec_lo, s16
	s_cbranch_execz .LBB10_92
; %bb.91:                               ;   in Loop: Header=BB10_78 Depth=2
	v_or_b32_e32 v30, 64, v30
	s_wait_storecnt 0x0
	s_wait_loadcnt_dscnt 0x0
	ds_store_b32 v0, v4
	s_trap 2
.LBB10_92:                              ;   in Loop: Header=BB10_78 Depth=2
	s_or_b32 exec_lo, exec_lo, s13
.LBB10_93:                              ;   in Loop: Header=BB10_78 Depth=2
	s_delay_alu instid0(SALU_CYCLE_1) | instskip(SKIP_4) | instid1(VALU_DEP_2)
	s_or_b32 exec_lo, exec_lo, s15
	v_and_b32_e32 v4, 0x100, v30
	v_and_b32_e32 v48, 7, v100
	s_mov_b32 s13, -1
	;;#ASMSTART
	s_wakeup
	;;#ASMEND
	v_cmp_ne_u32_e32 vcc_lo, 0, v4
                                        ; implicit-def: $vgpr4_vgpr5
	s_and_saveexec_b32 s15, vcc_lo
	s_cbranch_execz .LBB10_97
; %bb.94:                               ;   in Loop: Header=BB10_78 Depth=2
	v_mad_nc_u64_u32 v[100:101], v48, 24, v[12:13]
	v_ashrrev_i32_e32 v115, 31, v114
	s_clause 0x1
	flat_load_b32 v4, v[100:101]
	flat_store_b64 v[100:101], v[114:115] offset:8
	s_wait_loadcnt_dscnt 0x1
	v_cmp_eq_u32_e64 s13, 1, v4
	v_cmp_ne_u32_e32 vcc_lo, 1, v4
                                        ; implicit-def: $vgpr4_vgpr5
	s_wait_xcnt 0x0
	s_and_saveexec_b32 s16, s13
	s_cbranch_execz .LBB10_96
; %bb.95:                               ;   in Loop: Header=BB10_78 Depth=2
	flat_load_b32 v4, v[100:101] offset:4 scope:SCOPE_SYS
	s_wait_loadcnt_dscnt 0x0
	v_ashrrev_i32_e32 v5, 31, v4
.LBB10_96:                              ;   in Loop: Header=BB10_78 Depth=2
	s_wait_xcnt 0x0
	s_or_b32 exec_lo, exec_lo, s16
	s_delay_alu instid0(SALU_CYCLE_1)
	s_or_not1_b32 s13, vcc_lo, exec_lo
.LBB10_97:                              ;   in Loop: Header=BB10_78 Depth=2
	s_or_b32 exec_lo, exec_lo, s15
	s_and_saveexec_b32 s15, s13
; %bb.98:                               ;   in Loop: Header=BB10_78 Depth=2
	v_mul_u64_e32 v[4:5], v[48:49], v[28:29]
; %bb.99:                               ;   in Loop: Header=BB10_78 Depth=2
	s_or_b32 exec_lo, exec_lo, s15
	s_delay_alu instid0(VALU_DEP_1)
	v_add_nc_u64_e32 v[4:5], v[32:33], v[4:5]
	v_and_b32_e32 v48, 0x2000, v30
	s_mov_b32 s13, exec_lo
	ds_store_b64 v0, v[4:5] offset:792
	v_cmpx_ne_u32_e32 0, v48
	s_cbranch_execz .LBB10_101
; %bb.100:                              ;   in Loop: Header=BB10_78 Depth=2
	ds_load_b64 v[4:5], v0 offset:872
	s_wait_dscnt 0x0
	v_add_nc_u64_e32 v[4:5], 1, v[4:5]
	ds_store_b64 v0, v[4:5] offset:872
.LBB10_101:                             ;   in Loop: Header=BB10_78 Depth=2
	s_or_b32 exec_lo, exec_lo, s13
	v_mov_b64_e32 v[100:101], v[2:3]
.LBB10_102:                             ;   in Loop: Header=BB10_78 Depth=2
	s_or_b32 exec_lo, exec_lo, s14
	s_and_saveexec_b32 s13, s1
	s_cbranch_execz .LBB10_121
; %bb.103:                              ;   in Loop: Header=BB10_78 Depth=2
	s_and_saveexec_b32 s14, s2
	s_delay_alu instid0(SALU_CYCLE_1)
	s_xor_b32 s14, exec_lo, s14
	s_cbranch_execz .LBB10_118
; %bb.104:                              ;   in Loop: Header=BB10_78 Depth=2
	s_and_saveexec_b32 s15, s5
	s_cbranch_execz .LBB10_117
; %bb.105:                              ;   in Loop: Header=BB10_78 Depth=2
	s_mov_b32 s17, exec_lo
	s_mov_b32 s16, exec_lo
	v_mbcnt_lo_u32_b32 v2, s17, 0
	global_wb scope:SCOPE_DEV
	s_wait_storecnt 0x0
	s_wait_loadcnt_dscnt 0x0
	global_inv scope:SCOPE_DEV
	v_cmpx_eq_u32_e32 0, v2
	s_cbranch_execz .LBB10_107
; %bb.106:                              ;   in Loop: Header=BB10_78 Depth=2
	s_bcnt1_i32_b32 s17, s17
	s_delay_alu instid0(SALU_CYCLE_1)
	v_mov_b32_e32 v48, s17
	s_wait_loadcnt 0x0
	ds_add_u64 v0, v[48:49]
	s_trap 2
.LBB10_107:                             ;   in Loop: Header=BB10_78 Depth=2
	s_or_b32 exec_lo, exec_lo, s16
	s_trap 2
	ds_load_b64 v[2:3], v0
	s_wait_dscnt 0x0
	v_add_nc_u64_e32 v[14:15], v[14:15], v[50:51]
	s_mov_b32 s16, exec_lo
	s_delay_alu instid0(VALU_DEP_1)
	v_cmpx_lt_u64_e64 v[2:3], v[14:15]
	s_cbranch_execz .LBB10_116
; %bb.108:                              ;   in Loop: Header=BB10_78 Depth=2
	s_mov_b32 s17, 0
	s_mov_b32 s45, 0
                                        ; implicit-def: $sgpr43
                                        ; implicit-def: $sgpr44
	s_branch .LBB10_110
.LBB10_109:                             ;   in Loop: Header=BB10_110 Depth=3
	s_or_b32 exec_lo, exec_lo, s47
	s_delay_alu instid0(SALU_CYCLE_1) | instskip(NEXT) | instid1(SALU_CYCLE_1)
	s_and_b32 s46, exec_lo, s56
	s_or_b32 s17, s46, s17
	s_and_not1_b32 s43, s43, exec_lo
	s_and_b32 s46, s44, exec_lo
	s_delay_alu instid0(SALU_CYCLE_1)
	s_or_b32 s43, s43, s46
	s_and_not1_b32 exec_lo, exec_lo, s17
	s_cbranch_execz .LBB10_114
.LBB10_110:                             ;   Parent Loop BB10_73 Depth=1
                                        ;     Parent Loop BB10_78 Depth=2
                                        ; =>    This Inner Loop Header: Depth=3
	s_add_co_i32 s45, s45, 1
	s_delay_alu instid0(SALU_CYCLE_1) | instskip(SKIP_1) | instid1(SALU_CYCLE_1)
	s_cmp_lg_u32 s45, 0x2710
	s_cselect_b32 s46, -1, 0
	s_and_b32 vcc_lo, exec_lo, s46
	s_cbranch_vccz .LBB10_112
; %bb.111:                              ;   in Loop: Header=BB10_110 Depth=3
	s_mov_b32 s56, -1
	s_or_b32 s44, s44, exec_lo
	s_and_saveexec_b32 s47, s46
	s_cbranch_execz .LBB10_109
	s_branch .LBB10_113
.LBB10_112:                             ;   in Loop: Header=BB10_110 Depth=3
	s_trap 2
	ds_load_b64 v[2:3], v0
	s_and_not1_b32 s46, s46, exec_lo
	s_mov_b32 s45, 0
	s_wait_loadcnt_dscnt 0x0
	flat_load_b32 v2, v[2:3] scope:SCOPE_SYS
	s_wait_loadcnt_dscnt 0x0
	global_inv scope:SCOPE_SYS
	v_cmp_eq_u32_e32 vcc_lo, 0, v2
	s_and_b32 s47, vcc_lo, exec_lo
	s_delay_alu instid0(SALU_CYCLE_1)
	s_or_b32 s46, s46, s47
	s_mov_b32 s56, -1
	s_or_b32 s44, s44, exec_lo
	s_and_saveexec_b32 s47, s46
	s_cbranch_execz .LBB10_109
.LBB10_113:                             ;   in Loop: Header=BB10_110 Depth=3
	s_sleep 1
	s_trap 2
	ds_load_b64 v[2:3], v0
	s_wait_dscnt 0x0
	s_and_not1_b32 s44, s44, exec_lo
	v_cmp_ge_u64_e32 vcc_lo, v[2:3], v[14:15]
	s_or_not1_b32 s56, vcc_lo, exec_lo
	s_branch .LBB10_109
.LBB10_114:                             ;   in Loop: Header=BB10_78 Depth=2
	s_or_b32 exec_lo, exec_lo, s17
	s_and_saveexec_b32 s17, s43
	s_delay_alu instid0(SALU_CYCLE_1)
	s_xor_b32 s17, exec_lo, s17
	s_cbranch_execz .LBB10_116
; %bb.115:                              ;   in Loop: Header=BB10_78 Depth=2
	ds_store_b32 v0, v60
	s_trap 2
.LBB10_116:                             ;   in Loop: Header=BB10_78 Depth=2
	s_or_b32 exec_lo, exec_lo, s16
	;;#ASMSTART
	s_wakeup
	;;#ASMEND
.LBB10_117:                             ;   in Loop: Header=BB10_78 Depth=2
	s_or_b32 exec_lo, exec_lo, s15
.LBB10_118:                             ;   in Loop: Header=BB10_78 Depth=2
	s_and_not1_saveexec_b32 s14, s14
	s_cbranch_execz .LBB10_120
; %bb.119:                              ;   in Loop: Header=BB10_78 Depth=2
	global_wb scope:SCOPE_DEV
	s_wait_storecnt 0x0
	s_wait_loadcnt_dscnt 0x0
	global_inv scope:SCOPE_DEV
	s_barrier_signal -1
	s_barrier_wait -1
.LBB10_120:                             ;   in Loop: Header=BB10_78 Depth=2
	s_or_b32 exec_lo, exec_lo, s14
.LBB10_121:                             ;   in Loop: Header=BB10_78 Depth=2
	s_delay_alu instid0(SALU_CYCLE_1) | instskip(SKIP_3) | instid1(VALU_DEP_1)
	s_or_b32 exec_lo, exec_lo, s13
	s_trap 2
	ds_load_b32 v2, v0
	v_and_b32_e32 v3, 0x4000, v30
	v_cmp_ne_u32_e32 vcc_lo, 0, v3
	s_and_b32 s14, s27, vcc_lo
	s_delay_alu instid0(SALU_CYCLE_1)
	s_and_saveexec_b32 s13, s14
	s_cbranch_execz .LBB10_140
; %bb.122:                              ;   in Loop: Header=BB10_78 Depth=2
	s_and_saveexec_b32 s14, s2
	s_delay_alu instid0(SALU_CYCLE_1)
	s_xor_b32 s14, exec_lo, s14
	s_cbranch_execz .LBB10_137
; %bb.123:                              ;   in Loop: Header=BB10_78 Depth=2
	s_and_saveexec_b32 s15, s5
	s_cbranch_execz .LBB10_136
; %bb.124:                              ;   in Loop: Header=BB10_78 Depth=2
	s_mov_b32 s17, exec_lo
	s_mov_b32 s16, exec_lo
	v_mbcnt_lo_u32_b32 v3, s17, 0
	global_wb scope:SCOPE_DEV
	s_wait_storecnt 0x0
	s_wait_loadcnt_dscnt 0x0
	global_inv scope:SCOPE_DEV
	v_cmpx_eq_u32_e32 0, v3
	s_cbranch_execz .LBB10_126
; %bb.125:                              ;   in Loop: Header=BB10_78 Depth=2
	s_bcnt1_i32_b32 s17, s17
	s_delay_alu instid0(SALU_CYCLE_1)
	v_mov_b32_e32 v48, s17
	s_wait_loadcnt 0x0
	ds_add_u64 v0, v[48:49]
	s_trap 2
.LBB10_126:                             ;   in Loop: Header=BB10_78 Depth=2
	s_or_b32 exec_lo, exec_lo, s16
	s_trap 2
	ds_load_b64 v[4:5], v0
	s_wait_dscnt 0x0
	v_add_nc_u64_e32 v[14:15], v[14:15], v[50:51]
	s_mov_b32 s16, exec_lo
	s_delay_alu instid0(VALU_DEP_1)
	v_cmpx_lt_u64_e64 v[4:5], v[14:15]
	s_cbranch_execz .LBB10_135
; %bb.127:                              ;   in Loop: Header=BB10_78 Depth=2
	s_mov_b32 s17, 0
	s_mov_b32 s45, 0
                                        ; implicit-def: $sgpr43
                                        ; implicit-def: $sgpr44
	s_branch .LBB10_129
.LBB10_128:                             ;   in Loop: Header=BB10_129 Depth=3
	s_or_b32 exec_lo, exec_lo, s47
	s_delay_alu instid0(SALU_CYCLE_1) | instskip(NEXT) | instid1(SALU_CYCLE_1)
	s_and_b32 s46, exec_lo, s56
	s_or_b32 s17, s46, s17
	s_and_not1_b32 s43, s43, exec_lo
	s_and_b32 s46, s44, exec_lo
	s_delay_alu instid0(SALU_CYCLE_1)
	s_or_b32 s43, s43, s46
	s_and_not1_b32 exec_lo, exec_lo, s17
	s_cbranch_execz .LBB10_133
.LBB10_129:                             ;   Parent Loop BB10_73 Depth=1
                                        ;     Parent Loop BB10_78 Depth=2
                                        ; =>    This Inner Loop Header: Depth=3
	s_add_co_i32 s45, s45, 1
	s_delay_alu instid0(SALU_CYCLE_1) | instskip(SKIP_1) | instid1(SALU_CYCLE_1)
	s_cmp_lg_u32 s45, 0x2710
	s_cselect_b32 s46, -1, 0
	s_and_b32 vcc_lo, exec_lo, s46
	s_cbranch_vccz .LBB10_131
; %bb.130:                              ;   in Loop: Header=BB10_129 Depth=3
	s_mov_b32 s56, -1
	s_or_b32 s44, s44, exec_lo
	s_and_saveexec_b32 s47, s46
	s_cbranch_execz .LBB10_128
	s_branch .LBB10_132
.LBB10_131:                             ;   in Loop: Header=BB10_129 Depth=3
	s_trap 2
	ds_load_b64 v[4:5], v0
	s_and_not1_b32 s46, s46, exec_lo
	s_mov_b32 s45, 0
	s_wait_loadcnt_dscnt 0x0
	flat_load_b32 v3, v[4:5] scope:SCOPE_SYS
	s_wait_loadcnt_dscnt 0x0
	global_inv scope:SCOPE_SYS
	v_cmp_eq_u32_e32 vcc_lo, 0, v3
	s_and_b32 s47, vcc_lo, exec_lo
	s_delay_alu instid0(SALU_CYCLE_1)
	s_or_b32 s46, s46, s47
	s_mov_b32 s56, -1
	s_or_b32 s44, s44, exec_lo
	s_and_saveexec_b32 s47, s46
	s_cbranch_execz .LBB10_128
.LBB10_132:                             ;   in Loop: Header=BB10_129 Depth=3
	s_sleep 1
	s_trap 2
	ds_load_b64 v[4:5], v0
	s_wait_dscnt 0x0
	s_and_not1_b32 s44, s44, exec_lo
	v_cmp_ge_u64_e32 vcc_lo, v[4:5], v[14:15]
	s_or_not1_b32 s56, vcc_lo, exec_lo
	s_branch .LBB10_128
.LBB10_133:                             ;   in Loop: Header=BB10_78 Depth=2
	s_or_b32 exec_lo, exec_lo, s17
	s_and_saveexec_b32 s17, s43
	s_delay_alu instid0(SALU_CYCLE_1)
	s_xor_b32 s17, exec_lo, s17
	s_cbranch_execz .LBB10_135
; %bb.134:                              ;   in Loop: Header=BB10_78 Depth=2
	ds_store_b32 v0, v60
	s_trap 2
.LBB10_135:                             ;   in Loop: Header=BB10_78 Depth=2
	s_or_b32 exec_lo, exec_lo, s16
	;;#ASMSTART
	s_wakeup
	;;#ASMEND
.LBB10_136:                             ;   in Loop: Header=BB10_78 Depth=2
	s_or_b32 exec_lo, exec_lo, s15
.LBB10_137:                             ;   in Loop: Header=BB10_78 Depth=2
	s_and_not1_saveexec_b32 s14, s14
	s_cbranch_execz .LBB10_139
; %bb.138:                              ;   in Loop: Header=BB10_78 Depth=2
	global_wb scope:SCOPE_DEV
	s_wait_storecnt 0x0
	s_wait_loadcnt_dscnt 0x0
	global_inv scope:SCOPE_DEV
	s_barrier_signal -1
	s_barrier_wait -1
.LBB10_139:                             ;   in Loop: Header=BB10_78 Depth=2
	s_or_b32 exec_lo, exec_lo, s14
.LBB10_140:                             ;   in Loop: Header=BB10_78 Depth=2
	s_delay_alu instid0(SALU_CYCLE_1)
	s_or_b32 exec_lo, exec_lo, s13
	s_trap 2
	ds_load_b64 v[118:119], v0
	s_wait_dscnt 0x0
	v_cmp_eq_u64_e32 vcc_lo, 0, v[118:119]
	s_cbranch_vccnz .LBB10_149
; %bb.141:                              ;   in Loop: Header=BB10_78 Depth=2
	s_trap 2
	ds_load_b64 v[40:41], v0
	s_wait_dscnt 0x0
	v_cmp_eq_u64_e32 vcc_lo, 0, v[40:41]
	s_cbranch_vccnz .LBB10_149
; %bb.142:                              ;   in Loop: Header=BB10_78 Depth=2
	s_trap 2
	ds_load_b64 v[42:43], v0
	v_cmp_eq_u32_e64 s13, 0, v2
	s_delay_alu instid0(VALU_DEP_1)
	v_cndmask_b32_e64 v48, 0, v114, s13
	s_mov_b32 s13, -1
	s_wait_dscnt 0x0
	v_cmp_ne_u64_e32 vcc_lo, 0, v[42:43]
	s_cbranch_vccz .LBB10_180
; %bb.143:                              ;   in Loop: Header=BB10_78 Depth=2
	s_and_saveexec_b32 s14, s6
	s_cbranch_execz .LBB10_145
; %bb.144:                              ;   in Loop: Header=BB10_78 Depth=2
	ds_load_b32 v2, v0 offset:720
	s_wait_dscnt 0x0
	v_and_b32_e32 v2, 15, v2
	s_delay_alu instid0(VALU_DEP_1)
	v_cmp_eq_u32_e32 vcc_lo, 0, v2
	s_or_not1_b32 s13, vcc_lo, exec_lo
.LBB10_145:                             ;   in Loop: Header=BB10_78 Depth=2
	s_or_b32 exec_lo, exec_lo, s14
	s_and_saveexec_b32 s14, s7
	s_cbranch_execz .LBB10_147
; %bb.146:                              ;   in Loop: Header=BB10_78 Depth=2
	ds_load_b32 v2, v0 offset:784
	s_wait_dscnt 0x0
	v_and_b32_e32 v2, 15, v2
	s_delay_alu instid0(VALU_DEP_1) | instskip(SKIP_3) | instid1(SALU_CYCLE_1)
	v_cmp_eq_u32_e32 vcc_lo, 0, v2
	s_and_b32 s15, s13, vcc_lo
	s_and_not1_b32 s13, s13, exec_lo
	s_and_b32 s15, s15, exec_lo
	s_or_b32 s13, s13, s15
.LBB10_147:                             ;   in Loop: Header=BB10_78 Depth=2
	s_or_b32 exec_lo, exec_lo, s14
	s_xor_b32 s13, s13, -1
	v_dual_mov_b32 v113, 0 :: v_dual_mov_b32 v115, v48
	v_cndmask_b32_e64 v2, 0, 1, s13
	v_mov_b32_e32 v44, v0
	s_mov_b32 s13, -1
	s_delay_alu instid0(VALU_DEP_2)
	v_cmp_ne_u32_e32 vcc_lo, 0, v2
	v_mov_b32_e32 v2, v62
	s_cbranch_vccz .LBB10_154
; %bb.148:                              ;   in Loop: Header=BB10_78 Depth=2
	s_and_saveexec_b32 s15, s13
	s_cbranch_execnz .LBB10_169
	s_branch .LBB10_179
.LBB10_149:                             ;   in Loop: Header=BB10_78 Depth=2
	s_mov_b32 s13, 0
	s_and_saveexec_b32 s14, s1
	s_cbranch_execnz .LBB10_210
.LBB10_150:                             ;   in Loop: Header=BB10_78 Depth=2
	s_or_b32 exec_lo, exec_lo, s14
                                        ; implicit-def: $vgpr2
	s_and_saveexec_b32 s14, s10
	s_delay_alu instid0(SALU_CYCLE_1)
	s_xor_b32 s14, exec_lo, s14
	s_cbranch_execz .LBB10_228
.LBB10_151:                             ;   in Loop: Header=BB10_78 Depth=2
	v_and_b32_e32 v2, 16, v30
	s_delay_alu instid0(VALU_DEP_1) | instskip(SKIP_2) | instid1(SALU_CYCLE_1)
	v_cmp_ne_u32_e32 vcc_lo, 0, v2
	v_and_b32_e32 v2, 16, v30
	s_and_b32 s15, vcc_lo, s13
	s_and_saveexec_b32 s13, s15
	s_cbranch_execz .LBB10_153
; %bb.152:                              ;   in Loop: Header=BB10_78 Depth=2
	v_mov_b32_e32 v2, 1
	global_wb scope:SCOPE_SYS
	s_wait_storecnt 0x0
	s_wait_loadcnt_dscnt 0x0
	global_inv scope:SCOPE_SYS
.LBB10_153:                             ;   in Loop: Header=BB10_78 Depth=2
	s_or_b32 exec_lo, exec_lo, s13
	s_and_not1_saveexec_b32 s13, s14
	s_cbranch_execz .LBB10_247
	s_branch .LBB10_229
.LBB10_154:                             ;   in Loop: Header=BB10_78 Depth=2
	v_ashrrev_i32_e32 v2, 31, v48
	s_mov_b32 s13, exec_lo
	s_delay_alu instid0(VALU_DEP_1) | instskip(NEXT) | instid1(VALU_DEP_1)
	v_lshrrev_b32_e32 v2, 22, v2
	v_add_nc_u32_e32 v2, v48, v2
	s_delay_alu instid0(VALU_DEP_1) | instskip(NEXT) | instid1(VALU_DEP_1)
	v_ashrrev_i32_e32 v113, 10, v2
	v_sub_nc_u32_e32 v46, v113, v62
	s_delay_alu instid0(VALU_DEP_1)
	v_cmpx_lt_i32_e32 0, v46
	s_cbranch_execz .LBB10_158
; %bb.155:                              ;   in Loop: Header=BB10_78 Depth=2
	v_add_nc_u64_e32 v[2:3], v[118:119], v[84:85]
	v_add_nc_u64_e32 v[4:5], v[40:41], v[84:85]
	;; [unrolled: 1-line block ×3, first 2 shown]
	s_mov_b32 s14, 0
.LBB10_156:                             ;   Parent Loop BB10_73 Depth=1
                                        ;     Parent Loop BB10_78 Depth=2
                                        ; =>    This Inner Loop Header: Depth=3
	s_clause 0x1
	global_load_b128 v[74:77], v[2:3], off th:TH_LOAD_NT
	global_load_b128 v[88:91], v[2:3], off offset:512 th:TH_LOAD_NT
	v_sub_nc_u32_e32 v46, v46, v50
	s_wait_xcnt 0x0
	v_add_nc_u64_e32 v[2:3], v[2:3], v[64:65]
	s_wait_loadcnt 0x1
	global_store_b128 v[4:5], v[74:77], off th:TH_STORE_NT
	s_wait_loadcnt 0x0
	global_store_b128 v[4:5], v[88:91], off offset:512 th:TH_STORE_NT
	s_clause 0x1
	global_store_b128 v[44:45], v[74:77], off th:TH_STORE_NT
	global_store_b128 v[44:45], v[88:91], off offset:512 th:TH_STORE_NT
	v_cmp_gt_i32_e32 vcc_lo, 1, v46
	s_wait_xcnt 0x2
	v_add_nc_u64_e32 v[4:5], v[4:5], v[64:65]
	s_wait_xcnt 0x0
	v_add_nc_u64_e32 v[44:45], v[44:45], v[64:65]
	s_or_b32 s14, vcc_lo, s14
	s_delay_alu instid0(SALU_CYCLE_1)
	s_and_not1_b32 exec_lo, exec_lo, s14
	s_cbranch_execnz .LBB10_156
; %bb.157:                              ;   in Loop: Header=BB10_78 Depth=2
	s_or_b32 exec_lo, exec_lo, s14
.LBB10_158:                             ;   in Loop: Header=BB10_78 Depth=2
	s_delay_alu instid0(SALU_CYCLE_1) | instskip(SKIP_3) | instid1(VALU_DEP_1)
	s_or_b32 exec_lo, exec_lo, s13
	v_dual_mov_b32 v113, 0 :: v_dual_lshlrev_b32 v74, 10, v113
	s_mov_b32 s13, 0
	s_mov_b32 s43, exec_lo
                                        ; implicit-def: $vgpr115
                                        ; implicit-def: $vgpr44
                                        ; implicit-def: $vgpr2
	v_cmpx_ne_u32_e64 v48, v74
	s_cbranch_execz .LBB10_168
; %bb.159:                              ;   in Loop: Header=BB10_78 Depth=2
	v_lshlrev_b32_e32 v2, 5, v46
	v_sub_nc_u32_e32 v4, v48, v74
	s_mov_b32 s44, exec_lo
	s_delay_alu instid0(VALU_DEP_1) | instskip(NEXT) | instid1(VALU_DEP_1)
	v_dual_sub_nc_u32 v2, v63, v2 :: v_dual_ashrrev_i32 v5, 31, v4
	v_dual_ashrrev_i32 v3, 31, v2 :: v_dual_lshrrev_b32 v5, 23, v5
	s_delay_alu instid0(VALU_DEP_1) | instskip(NEXT) | instid1(VALU_DEP_1)
	v_lshrrev_b32_e32 v3, 27, v3
	v_dual_add_nc_u32 v3, v2, v3 :: v_dual_add_nc_u32 v5, v4, v5
	s_delay_alu instid0(VALU_DEP_1) | instskip(SKIP_1) | instid1(VALU_DEP_3)
	v_and_b32_e32 v113, 0xffffffe0, v3
	v_ashrrev_i32_e32 v3, 5, v3
	v_and_b32_e32 v75, 0xfffffe00, v5
	v_ashrrev_i32_e32 v5, 9, v5
	s_delay_alu instid0(VALU_DEP_2) | instskip(NEXT) | instid1(VALU_DEP_1)
	v_dual_sub_nc_u32 v76, v2, v113 :: v_dual_sub_nc_u32 v77, v4, v75
	v_lshlrev_b32_e32 v2, 4, v76
	s_delay_alu instid0(VALU_DEP_2) | instskip(NEXT) | instid1(VALU_DEP_2)
	v_cmp_lt_i32_e64 s13, 15, v77
	v_lshl_add_u32 v2, v3, 9, v2
	s_delay_alu instid0(VALU_DEP_2) | instskip(NEXT) | instid1(VALU_DEP_1)
	v_add_co_ci_u32_e64 v5, null, 0, v5, s13
	v_dual_sub_nc_u32 v113, v4, v2 :: v_dual_sub_nc_u32 v78, v5, v3
	s_delay_alu instid0(VALU_DEP_1)
	v_cmpx_lt_i32_e32 15, v113
	s_cbranch_execz .LBB10_165
; %bb.160:                              ;   in Loop: Header=BB10_78 Depth=2
	v_add_nc_u32_e32 v2, v2, v74
	s_mov_b32 s45, 0
	s_delay_alu instid0(VALU_DEP_1) | instskip(NEXT) | instid1(VALU_DEP_1)
	v_ashrrev_i32_e32 v3, 31, v2
	v_add_nc_u64_e32 v[44:45], v[2:3], v[118:119]
	v_add_nc_u64_e32 v[46:47], v[2:3], v[40:41]
	;; [unrolled: 1-line block ×3, first 2 shown]
.LBB10_161:                             ;   Parent Loop BB10_73 Depth=1
                                        ;     Parent Loop BB10_78 Depth=2
                                        ; =>    This Loop Header: Depth=3
                                        ;         Child Loop BB10_162 Depth 4
	global_load_b128 v[2:5], v[44:45], off th:TH_LOAD_NT
	s_mov_b64 s[16:17], 0
	s_mov_b32 s46, -1
.LBB10_162:                             ;   Parent Loop BB10_73 Depth=1
                                        ;     Parent Loop BB10_78 Depth=2
                                        ;       Parent Loop BB10_161 Depth=3
                                        ; =>      This Inner Loop Header: Depth=4
	s_cmp_eq_u32 s16, 1
	s_cselect_b32 vcc_lo, -1, 0
	s_cmp_eq_u32 s16, 0
	s_wait_xcnt 0x0
	v_dual_cndmask_b32 v89, v47, v57 :: v_dual_cndmask_b32 v88, v46, v56
	s_cselect_b32 s14, -1, 0
	s_and_b32 s15, exec_lo, s46
	s_mov_b64 s[16:17], 1
	s_mov_b32 s46, 0
	v_add_nc_u64_e32 v[90:91], 0x200, v[88:89]
	s_wait_loadcnt 0x0
	global_store_b128 v[88:89], v[2:5], off th:TH_STORE_NT
	v_dual_cndmask_b32 v57, v57, v91 :: v_dual_cndmask_b32 v56, v56, v90
	v_dual_cndmask_b32 v47, v47, v91, s14 :: v_dual_cndmask_b32 v46, v46, v90, s14
	s_mov_b32 vcc_lo, s15
	s_cbranch_vccnz .LBB10_162
; %bb.163:                              ;   in Loop: Header=BB10_161 Depth=3
	v_dual_sub_nc_u32 v113, v113, v68 :: v_dual_sub_nc_u32 v78, v78, v50
	s_delay_alu instid0(VALU_DEP_2)
	v_add_nc_u64_e32 v[46:47], v[46:47], v[82:83]
	v_add_nc_u64_e32 v[56:57], v[56:57], v[82:83]
	s_wait_xcnt 0x1
	v_add_nc_u64_e32 v[44:45], v[96:97], v[44:45]
	v_cmp_gt_i32_e32 vcc_lo, 16, v113
	s_or_b32 s45, vcc_lo, s45
	s_wait_xcnt 0x0
	s_and_not1_b32 exec_lo, exec_lo, s45
	s_cbranch_execnz .LBB10_161
; %bb.164:                              ;   in Loop: Header=BB10_78 Depth=2
	s_or_b32 exec_lo, exec_lo, s45
.LBB10_165:                             ;   in Loop: Header=BB10_78 Depth=2
	s_delay_alu instid0(SALU_CYCLE_1) | instskip(SKIP_3) | instid1(VALU_DEP_1)
	s_or_b32 exec_lo, exec_lo, s44
	v_dual_mov_b32 v113, 0 :: v_dual_bitop2_b32 v3, 15, v48 bitop3:0x40
	s_mov_b32 s14, 0
	s_mov_b32 s15, exec_lo
                                        ; implicit-def: $vgpr44
                                        ; implicit-def: $vgpr2
	v_cndmask_b32_e64 v115, v77, v3, s13
	s_delay_alu instid0(VALU_DEP_1)
	v_cmpx_ne_u32_e32 0, v115
	s_cbranch_execz .LBB10_167
; %bb.166:                              ;   in Loop: Header=BB10_78 Depth=2
	v_cmp_lt_i32_e32 vcc_lo, 0, v78
	s_mov_b32 s14, exec_lo
	v_dual_cndmask_b32 v2, 0, v50 :: v_dual_sub_nc_u32 v3, v77, v3
	s_delay_alu instid0(VALU_DEP_1) | instskip(NEXT) | instid1(VALU_DEP_1)
	v_dual_cndmask_b32 v3, 0, v3, s13 :: v_dual_sub_nc_u32 v2, v2, v78
	v_add3_u32 v113, v75, v74, v3
	s_delay_alu instid0(VALU_DEP_2) | instskip(NEXT) | instid1(VALU_DEP_1)
	v_lshl_add_u32 v44, v2, 5, v76
	v_ashrrev_i32_e32 v2, 31, v44
	s_delay_alu instid0(VALU_DEP_1) | instskip(NEXT) | instid1(VALU_DEP_1)
	v_lshrrev_b32_e32 v2, 27, v2
	v_add_nc_u32_e32 v2, v44, v2
	s_delay_alu instid0(VALU_DEP_1)
	v_ashrrev_i32_e32 v2, 5, v2
.LBB10_167:                             ;   in Loop: Header=BB10_78 Depth=2
	s_or_b32 exec_lo, exec_lo, s15
	s_delay_alu instid0(SALU_CYCLE_1)
	s_and_b32 s13, s14, exec_lo
.LBB10_168:                             ;   in Loop: Header=BB10_78 Depth=2
	s_or_b32 exec_lo, exec_lo, s43
	s_and_saveexec_b32 s15, s13
	s_cbranch_execz .LBB10_179
.LBB10_169:                             ;   in Loop: Header=BB10_78 Depth=2
	v_ashrrev_i32_e32 v3, 31, v115
	s_mov_b32 s13, exec_lo
	s_delay_alu instid0(VALU_DEP_1) | instskip(NEXT) | instid1(VALU_DEP_1)
	v_lshrrev_b32_e32 v3, 23, v3
	v_add_nc_u32_e32 v3, v115, v3
	s_delay_alu instid0(VALU_DEP_1) | instskip(NEXT) | instid1(VALU_DEP_1)
	v_dual_ashrrev_i32 v47, 9, v3 :: v_dual_ashrrev_i32 v3, 31, v44
	v_dual_sub_nc_u32 v45, v47, v2 :: v_dual_lshrrev_b32 v46, 27, v3
	s_delay_alu instid0(VALU_DEP_1)
	v_cmpx_lt_i32_e32 0, v45
	s_cbranch_execz .LBB10_173
; %bb.170:                              ;   in Loop: Header=BB10_78 Depth=2
	s_delay_alu instid0(VALU_DEP_2) | instskip(SKIP_2) | instid1(VALU_DEP_2)
	v_add_nc_u32_e32 v3, v44, v46
	v_add_nc_u64_e32 v[74:75], 0x1e0, v[118:119]
	s_mov_b32 s14, 0
	v_and_b32_e32 v3, 0xffffffe0, v3
	s_delay_alu instid0(VALU_DEP_1) | instskip(NEXT) | instid1(VALU_DEP_1)
	v_dual_lshlrev_b32 v2, 9, v2 :: v_dual_sub_nc_u32 v3, v44, v3
	v_add3_u32 v56, v113, v3, v2
	s_delay_alu instid0(VALU_DEP_1) | instskip(NEXT) | instid1(VALU_DEP_1)
	v_ashrrev_i32_e32 v57, 31, v56
	v_add_nc_u64_e32 v[2:3], v[56:57], v[40:41]
	v_add_nc_u64_e32 v[4:5], v[56:57], v[42:43]
	;; [unrolled: 1-line block ×3, first 2 shown]
.LBB10_171:                             ;   Parent Loop BB10_73 Depth=1
                                        ;     Parent Loop BB10_78 Depth=2
                                        ; =>    This Inner Loop Header: Depth=3
	s_clause 0xf
	flat_load_u8 v56, v[42:43] offset:-480 th:TH_LOAD_NT
	flat_load_u8 v57, v[42:43] offset:-448 th:TH_LOAD_NT
	;; [unrolled: 1-line block ×15, first 2 shown]
	flat_load_u8 v95, v[42:43] th:TH_LOAD_NT
	v_sub_nc_u32_e32 v45, v45, v50
	s_wait_xcnt 0x0
	v_add_nc_u64_e32 v[42:43], v[42:43], v[96:97]
	s_wait_loadcnt_dscnt 0xf0f
	flat_store_b8 v[2:3], v56 th:TH_STORE_NT
	s_wait_loadcnt_dscnt 0xe0f
	flat_store_b8 v[2:3], v57 offset:32 th:TH_STORE_NT
	s_wait_loadcnt_dscnt 0xd0f
	flat_store_b8 v[2:3], v74 offset:64 th:TH_STORE_NT
	;; [unrolled: 2-line block ×15, first 2 shown]
	s_clause 0xf
	flat_store_b8 v[4:5], v56 th:TH_STORE_NT
	flat_store_b8 v[4:5], v57 offset:32 th:TH_STORE_NT
	flat_store_b8 v[4:5], v74 offset:64 th:TH_STORE_NT
	;; [unrolled: 1-line block ×15, first 2 shown]
	v_cmp_gt_i32_e32 vcc_lo, 1, v45
	s_wait_xcnt 0x10
	v_add_nc_u64_e32 v[2:3], v[2:3], v[68:69]
	s_wait_xcnt 0x0
	v_add_nc_u64_e32 v[4:5], v[4:5], v[68:69]
	s_or_b32 s14, vcc_lo, s14
	s_delay_alu instid0(SALU_CYCLE_1)
	s_and_not1_b32 exec_lo, exec_lo, s14
	s_cbranch_execnz .LBB10_171
; %bb.172:                              ;   in Loop: Header=BB10_78 Depth=2
	s_or_b32 exec_lo, exec_lo, s14
.LBB10_173:                             ;   in Loop: Header=BB10_78 Depth=2
	s_delay_alu instid0(SALU_CYCLE_1) | instskip(SKIP_1) | instid1(VALU_DEP_1)
	s_or_b32 exec_lo, exec_lo, s13
	v_lshlrev_b32_e32 v2, 9, v47
	v_cmp_ne_u32_e32 vcc_lo, v115, v2
	s_and_b32 exec_lo, exec_lo, vcc_lo
	s_cbranch_execz .LBB10_179
; %bb.174:                              ;   in Loop: Header=BB10_78 Depth=2
	v_dual_add_nc_u32 v3, v44, v46 :: v_dual_lshlrev_b32 v4, 5, v45
	s_delay_alu instid0(VALU_DEP_1) | instskip(NEXT) | instid1(VALU_DEP_1)
	v_and_b32_e32 v3, 0xffffffe0, v3
	v_sub_nc_u32_e32 v3, v44, v3
	s_delay_alu instid0(VALU_DEP_1) | instskip(NEXT) | instid1(VALU_DEP_1)
	v_sub_nc_u32_e32 v3, v3, v4
	v_add_nc_u32_e32 v2, v2, v3
	s_delay_alu instid0(VALU_DEP_1) | instskip(NEXT) | instid1(VALU_DEP_1)
	v_sub_nc_u32_e32 v115, v115, v2
	v_cmp_lt_i32_e32 vcc_lo, 0, v115
	s_and_b32 exec_lo, exec_lo, vcc_lo
	s_cbranch_execz .LBB10_179
; %bb.175:                              ;   in Loop: Header=BB10_78 Depth=2
	s_trap 2
	ds_load_b64 v[4:5], v0
	ds_load_b128 v[42:45], v0
	v_add_nc_u32_e32 v46, v2, v113
	s_mov_b32 s43, 0
	s_delay_alu instid0(VALU_DEP_1) | instskip(SKIP_1) | instid1(VALU_DEP_1)
	v_ashrrev_i32_e32 v47, 31, v46
	s_wait_dscnt 0x1
	v_add_nc_u64_e32 v[2:3], v[4:5], v[46:47]
	s_wait_dscnt 0x0
	v_add_nc_u64_e32 v[4:5], v[42:43], v[46:47]
	v_add_nc_u64_e32 v[42:43], v[44:45], v[46:47]
.LBB10_176:                             ;   Parent Loop BB10_73 Depth=1
                                        ;     Parent Loop BB10_78 Depth=2
                                        ; =>    This Loop Header: Depth=3
                                        ;         Child Loop BB10_177 Depth 4
	flat_load_u8 v113, v[2:3] th:TH_LOAD_NT
	s_mov_b64 s[16:17], 0
	s_mov_b32 s44, -1
.LBB10_177:                             ;   Parent Loop BB10_73 Depth=1
                                        ;     Parent Loop BB10_78 Depth=2
                                        ;       Parent Loop BB10_176 Depth=3
                                        ; =>      This Inner Loop Header: Depth=4
	s_cmp_eq_u32 s16, 1
	s_cselect_b32 vcc_lo, -1, 0
	s_cmp_eq_u32 s16, 0
	s_wait_xcnt 0x0
	v_dual_cndmask_b32 v45, v5, v43 :: v_dual_cndmask_b32 v44, v4, v42
	s_cselect_b32 s13, -1, 0
	s_and_b32 s14, exec_lo, s44
	s_mov_b64 s[16:17], 1
	s_mov_b32 s44, 0
	v_add_nc_u64_e32 v[46:47], 32, v[44:45]
	s_wait_loadcnt_dscnt 0x0
	flat_store_b8 v[44:45], v113 th:TH_STORE_NT
	v_dual_cndmask_b32 v43, v43, v47 :: v_dual_cndmask_b32 v42, v42, v46
	v_dual_cndmask_b32 v5, v5, v47, s13 :: v_dual_cndmask_b32 v4, v4, v46, s13
	s_mov_b32 vcc_lo, s14
	s_cbranch_vccnz .LBB10_177
; %bb.178:                              ;   in Loop: Header=BB10_176 Depth=3
	v_sub_nc_u32_e32 v115, v115, v59
	s_delay_alu instid0(VALU_DEP_2)
	v_add_nc_u64_e32 v[4:5], v[4:5], v[70:71]
	v_add_nc_u64_e32 v[42:43], v[42:43], v[70:71]
	s_wait_xcnt 0x1
	v_add_nc_u64_e32 v[2:3], v[86:87], v[2:3]
	v_cmp_gt_i32_e32 vcc_lo, 1, v115
	s_or_b32 s43, vcc_lo, s43
	s_wait_xcnt 0x0
	s_and_not1_b32 exec_lo, exec_lo, s43
	s_cbranch_execnz .LBB10_176
.LBB10_179:                             ;   in Loop: Header=BB10_78 Depth=2
	s_or_b32 exec_lo, exec_lo, s15
	s_mov_b32 s13, 0
.LBB10_180:                             ;   in Loop: Header=BB10_78 Depth=2
	s_delay_alu instid0(SALU_CYCLE_1)
	s_and_b32 vcc_lo, exec_lo, s13
	s_cbranch_vccz .LBB10_209
; %bb.181:                              ;   in Loop: Header=BB10_78 Depth=2
	s_mov_b32 s13, -1
	s_and_saveexec_b32 s14, s6
	s_cbranch_execz .LBB10_183
; %bb.182:                              ;   in Loop: Header=BB10_78 Depth=2
	ds_load_b32 v2, v0 offset:720
	s_wait_dscnt 0x0
	v_and_b32_e32 v2, 15, v2
	s_delay_alu instid0(VALU_DEP_1)
	v_cmp_eq_u32_e32 vcc_lo, 0, v2
	s_or_not1_b32 s13, vcc_lo, exec_lo
.LBB10_183:                             ;   in Loop: Header=BB10_78 Depth=2
	s_or_b32 exec_lo, exec_lo, s14
	s_and_saveexec_b32 s14, s6
	s_cbranch_execz .LBB10_185
; %bb.184:                              ;   in Loop: Header=BB10_78 Depth=2
	ds_load_b32 v2, v0 offset:784
	s_wait_dscnt 0x0
	v_and_b32_e32 v2, 15, v2
	s_delay_alu instid0(VALU_DEP_1) | instskip(SKIP_3) | instid1(SALU_CYCLE_1)
	v_cmp_eq_u32_e32 vcc_lo, 0, v2
	s_and_b32 s15, s13, vcc_lo
	s_and_not1_b32 s13, s13, exec_lo
	s_and_b32 s15, s15, exec_lo
	s_or_b32 s13, s13, s15
.LBB10_185:                             ;   in Loop: Header=BB10_78 Depth=2
	s_or_b32 exec_lo, exec_lo, s14
	s_xor_b32 s13, s13, -1
	v_dual_mov_b32 v4, 0 :: v_dual_mov_b32 v5, v48
	v_cndmask_b32_e64 v2, 0, 1, s13
	v_mov_b32_e32 v113, v0
	s_mov_b32 s15, -1
	s_delay_alu instid0(VALU_DEP_2)
	v_cmp_ne_u32_e32 vcc_lo, 0, v2
	v_mov_b32_e32 v2, v62
	s_cbranch_vccz .LBB10_187
; %bb.186:                              ;   in Loop: Header=BB10_78 Depth=2
	s_and_saveexec_b32 s13, s15
	s_cbranch_execnz .LBB10_200
	s_branch .LBB10_208
.LBB10_187:                             ;   in Loop: Header=BB10_78 Depth=2
	v_ashrrev_i32_e32 v2, 31, v48
	s_mov_b32 s13, exec_lo
	s_delay_alu instid0(VALU_DEP_1) | instskip(NEXT) | instid1(VALU_DEP_1)
	v_lshrrev_b32_e32 v2, 21, v2
	v_add_nc_u32_e32 v2, v48, v2
	s_delay_alu instid0(VALU_DEP_1) | instskip(NEXT) | instid1(VALU_DEP_1)
	v_ashrrev_i32_e32 v113, 11, v2
	v_sub_nc_u32_e32 v42, v113, v62
	s_delay_alu instid0(VALU_DEP_1)
	v_cmpx_lt_i32_e32 0, v42
	s_cbranch_execz .LBB10_191
; %bb.188:                              ;   in Loop: Header=BB10_78 Depth=2
	v_mov_b64_e32 v[2:3], v[40:41]
	v_mov_b64_e32 v[4:5], v[118:119]
	s_mov_b32 s14, 0
.LBB10_189:                             ;   Parent Loop BB10_73 Depth=1
                                        ;     Parent Loop BB10_78 Depth=2
                                        ; =>    This Inner Loop Header: Depth=3
	s_delay_alu instid0(VALU_DEP_1)
	v_add_nc_u64_e32 v[56:57], v[98:99], v[4:5]
	v_sub_nc_u32_e32 v42, v42, v50
	v_add_nc_u64_e32 v[4:5], v[4:5], v[80:81]
	s_clause 0x3
	global_load_b128 v[44:47], v[56:57], off th:TH_LOAD_NT
	global_load_b128 v[74:77], v[56:57], off offset:512 th:TH_LOAD_NT
	global_load_b128 v[88:91], v[56:57], off offset:1024 th:TH_LOAD_NT
	;; [unrolled: 1-line block ×3, first 2 shown]
	s_wait_xcnt 0x0
	v_add_nc_u64_e32 v[56:57], v[98:99], v[2:3]
	v_cmp_gt_i32_e32 vcc_lo, 1, v42
	v_add_nc_u64_e32 v[2:3], v[2:3], v[80:81]
	s_wait_loadcnt 0x3
	global_store_b128 v[56:57], v[44:47], off th:TH_STORE_NT
	s_wait_loadcnt 0x2
	global_store_b128 v[56:57], v[74:77], off offset:512 th:TH_STORE_NT
	s_wait_loadcnt 0x1
	global_store_b128 v[56:57], v[88:91], off offset:1024 th:TH_STORE_NT
	;; [unrolled: 2-line block ×3, first 2 shown]
	s_or_b32 s14, vcc_lo, s14
	s_wait_xcnt 0x0
	s_and_not1_b32 exec_lo, exec_lo, s14
	s_cbranch_execnz .LBB10_189
; %bb.190:                              ;   in Loop: Header=BB10_78 Depth=2
	s_or_b32 exec_lo, exec_lo, s14
.LBB10_191:                             ;   in Loop: Header=BB10_78 Depth=2
	s_delay_alu instid0(SALU_CYCLE_1) | instskip(SKIP_3) | instid1(VALU_DEP_1)
	s_or_b32 exec_lo, exec_lo, s13
	v_dual_mov_b32 v4, 0 :: v_dual_lshlrev_b32 v115, 11, v113
	s_mov_b32 s15, 0
	s_mov_b32 s14, exec_lo
                                        ; implicit-def: $vgpr5
                                        ; implicit-def: $vgpr113
                                        ; implicit-def: $vgpr2
	v_cmpx_ne_u32_e64 v48, v115
	s_cbranch_execz .LBB10_199
; %bb.192:                              ;   in Loop: Header=BB10_78 Depth=2
	v_dual_lshlrev_b32 v2, 5, v42 :: v_dual_sub_nc_u32 v4, v48, v115
	s_mov_b32 s15, exec_lo
	s_delay_alu instid0(VALU_DEP_1) | instskip(NEXT) | instid1(VALU_DEP_1)
	v_dual_sub_nc_u32 v2, v63, v2 :: v_dual_ashrrev_i32 v5, 31, v4
	v_dual_ashrrev_i32 v3, 31, v2 :: v_dual_lshrrev_b32 v5, 23, v5
	s_delay_alu instid0(VALU_DEP_1) | instskip(NEXT) | instid1(VALU_DEP_1)
	v_lshrrev_b32_e32 v3, 27, v3
	v_dual_add_nc_u32 v3, v2, v3 :: v_dual_add_nc_u32 v5, v4, v5
	s_delay_alu instid0(VALU_DEP_1) | instskip(SKIP_1) | instid1(VALU_DEP_3)
	v_and_b32_e32 v113, 0xffffffe0, v3
	v_ashrrev_i32_e32 v3, 5, v3
	v_and_b32_e32 v42, 0xfffffe00, v5
	v_ashrrev_i32_e32 v5, 9, v5
	s_delay_alu instid0(VALU_DEP_2) | instskip(NEXT) | instid1(VALU_DEP_1)
	v_dual_sub_nc_u32 v43, v2, v113 :: v_dual_sub_nc_u32 v44, v4, v42
	v_lshlrev_b32_e32 v2, 4, v43
	s_delay_alu instid0(VALU_DEP_2) | instskip(NEXT) | instid1(VALU_DEP_2)
	v_cmp_lt_i32_e32 vcc_lo, 15, v44
	v_lshl_add_u32 v2, v3, 9, v2
	v_add_co_ci_u32_e64 v5, null, 0, v5, vcc_lo
	s_delay_alu instid0(VALU_DEP_1) | instskip(NEXT) | instid1(VALU_DEP_1)
	v_dual_sub_nc_u32 v4, v4, v2 :: v_dual_sub_nc_u32 v45, v5, v3
	v_cmpx_lt_i32_e32 15, v4
	s_cbranch_execz .LBB10_196
; %bb.193:                              ;   in Loop: Header=BB10_78 Depth=2
	v_add_nc_u32_e32 v2, v2, v115
	s_mov_b32 s16, 0
	s_delay_alu instid0(VALU_DEP_1)
	v_ashrrev_i32_e32 v3, 31, v2
.LBB10_194:                             ;   Parent Loop BB10_73 Depth=1
                                        ;     Parent Loop BB10_78 Depth=2
                                        ; =>    This Inner Loop Header: Depth=3
	s_delay_alu instid0(VALU_DEP_1) | instskip(SKIP_1) | instid1(VALU_DEP_1)
	v_add_nc_u64_e32 v[46:47], v[118:119], v[2:3]
	v_dual_sub_nc_u32 v4, v4, v68 :: v_dual_sub_nc_u32 v45, v45, v50
	v_cmp_gt_i32_e64 s13, 16, v4
	global_load_b128 v[74:77], v[46:47], off th:TH_LOAD_NT
	s_wait_xcnt 0x0
	v_add_nc_u64_e32 v[46:47], v[40:41], v[2:3]
	v_add_nc_u64_e32 v[2:3], v[2:3], v[96:97]
	s_or_b32 s16, s13, s16
	s_wait_loadcnt 0x0
	global_store_b128 v[46:47], v[74:77], off th:TH_STORE_NT
	s_wait_xcnt 0x0
	s_and_not1_b32 exec_lo, exec_lo, s16
	s_cbranch_execnz .LBB10_194
; %bb.195:                              ;   in Loop: Header=BB10_78 Depth=2
	s_or_b32 exec_lo, exec_lo, s16
.LBB10_196:                             ;   in Loop: Header=BB10_78 Depth=2
	s_delay_alu instid0(SALU_CYCLE_1) | instskip(SKIP_3) | instid1(VALU_DEP_1)
	s_or_b32 exec_lo, exec_lo, s15
	v_dual_mov_b32 v4, 0 :: v_dual_bitop2_b32 v3, 15, v48 bitop3:0x40
	s_mov_b32 s15, 0
	s_mov_b32 s16, exec_lo
                                        ; implicit-def: $vgpr113
                                        ; implicit-def: $vgpr2
	v_cndmask_b32_e32 v5, v44, v3, vcc_lo
	s_delay_alu instid0(VALU_DEP_1)
	v_cmpx_ne_u32_e32 0, v5
	s_cbranch_execz .LBB10_198
; %bb.197:                              ;   in Loop: Header=BB10_78 Depth=2
	v_cmp_lt_i32_e64 s13, 0, v45
	s_mov_b32 s15, exec_lo
	v_dual_sub_nc_u32 v3, v44, v3 :: v_dual_cndmask_b32 v2, 0, v50, s13
	s_delay_alu instid0(VALU_DEP_1) | instskip(NEXT) | instid1(VALU_DEP_1)
	v_dual_cndmask_b32 v3, 0, v3 :: v_dual_sub_nc_u32 v2, v2, v45
	v_add3_u32 v4, v42, v115, v3
	s_delay_alu instid0(VALU_DEP_2) | instskip(NEXT) | instid1(VALU_DEP_1)
	v_lshl_add_u32 v113, v2, 5, v43
	v_ashrrev_i32_e32 v2, 31, v113
	s_delay_alu instid0(VALU_DEP_1) | instskip(NEXT) | instid1(VALU_DEP_1)
	v_lshrrev_b32_e32 v2, 27, v2
	v_add_nc_u32_e32 v2, v113, v2
	s_delay_alu instid0(VALU_DEP_1)
	v_ashrrev_i32_e32 v2, 5, v2
.LBB10_198:                             ;   in Loop: Header=BB10_78 Depth=2
	s_or_b32 exec_lo, exec_lo, s16
	s_delay_alu instid0(SALU_CYCLE_1)
	s_and_b32 s15, s15, exec_lo
.LBB10_199:                             ;   in Loop: Header=BB10_78 Depth=2
	s_or_b32 exec_lo, exec_lo, s14
	s_and_saveexec_b32 s13, s15
	s_cbranch_execz .LBB10_208
.LBB10_200:                             ;   in Loop: Header=BB10_78 Depth=2
	v_ashrrev_i32_e32 v3, 31, v5
	s_mov_b32 s14, exec_lo
	s_delay_alu instid0(VALU_DEP_1) | instskip(NEXT) | instid1(VALU_DEP_1)
	v_lshrrev_b32_e32 v3, 23, v3
	v_add_nc_u32_e32 v3, v5, v3
	s_delay_alu instid0(VALU_DEP_1) | instskip(NEXT) | instid1(VALU_DEP_1)
	v_ashrrev_i32_e32 v42, 9, v3
	v_sub_nc_u32_e32 v115, v42, v2
	s_delay_alu instid0(VALU_DEP_1)
	v_cmpx_lt_i32_e32 0, v115
	s_cbranch_execz .LBB10_204
; %bb.201:                              ;   in Loop: Header=BB10_78 Depth=2
	v_dual_ashrrev_i32 v3, 31, v113 :: v_dual_lshlrev_b32 v2, 9, v2
	s_mov_b32 s15, 0
	s_delay_alu instid0(VALU_DEP_1) | instskip(NEXT) | instid1(VALU_DEP_1)
	v_lshrrev_b32_e32 v3, 27, v3
	v_add_nc_u32_e32 v3, v113, v3
	s_delay_alu instid0(VALU_DEP_1) | instskip(NEXT) | instid1(VALU_DEP_1)
	v_and_b32_e32 v3, 0xffffffe0, v3
	v_sub_nc_u32_e32 v3, v113, v3
	s_delay_alu instid0(VALU_DEP_1) | instskip(NEXT) | instid1(VALU_DEP_1)
	v_add3_u32 v2, v4, v3, v2
	v_ashrrev_i32_e32 v3, 31, v2
.LBB10_202:                             ;   Parent Loop BB10_73 Depth=1
                                        ;     Parent Loop BB10_78 Depth=2
                                        ; =>    This Inner Loop Header: Depth=3
	s_delay_alu instid0(VALU_DEP_1)
	v_add_nc_u64_e32 v[44:45], v[2:3], v[118:119]
	v_sub_nc_u32_e32 v115, v115, v50
	v_add_nc_u64_e32 v[118:119], v[118:119], v[96:97]
	s_clause 0xf
	flat_load_u8 v43, v[44:45] th:TH_LOAD_NT
	flat_load_u8 v46, v[44:45] offset:32 th:TH_LOAD_NT
	flat_load_u8 v47, v[44:45] offset:64 th:TH_LOAD_NT
	;; [unrolled: 1-line block ×15, first 2 shown]
	s_wait_xcnt 0x0
	v_add_nc_u64_e32 v[44:45], v[2:3], v[40:41]
	v_add_nc_u64_e32 v[40:41], v[40:41], v[96:97]
	v_cmp_gt_i32_e32 vcc_lo, 1, v115
	s_wait_loadcnt_dscnt 0xf0f
	flat_store_b8 v[44:45], v43 th:TH_STORE_NT
	s_wait_loadcnt_dscnt 0xe0f
	flat_store_b8 v[44:45], v46 offset:32 th:TH_STORE_NT
	s_wait_loadcnt_dscnt 0xd0f
	flat_store_b8 v[44:45], v47 offset:64 th:TH_STORE_NT
	;; [unrolled: 2-line block ×15, first 2 shown]
	s_or_b32 s15, vcc_lo, s15
	s_wait_xcnt 0x0
	s_and_not1_b32 exec_lo, exec_lo, s15
	s_cbranch_execnz .LBB10_202
; %bb.203:                              ;   in Loop: Header=BB10_78 Depth=2
	s_or_b32 exec_lo, exec_lo, s15
.LBB10_204:                             ;   in Loop: Header=BB10_78 Depth=2
	s_delay_alu instid0(SALU_CYCLE_1) | instskip(SKIP_1) | instid1(VALU_DEP_1)
	s_or_b32 exec_lo, exec_lo, s14
	v_lshlrev_b32_e32 v2, 9, v42
	v_cmp_ne_u32_e32 vcc_lo, v5, v2
	s_and_b32 exec_lo, exec_lo, vcc_lo
	s_cbranch_execz .LBB10_208
; %bb.205:                              ;   in Loop: Header=BB10_78 Depth=2
	v_ashrrev_i32_e32 v3, 31, v113
	s_delay_alu instid0(VALU_DEP_1) | instskip(NEXT) | instid1(VALU_DEP_1)
	v_lshrrev_b32_e32 v3, 27, v3
	v_add_nc_u32_e32 v3, v113, v3
	s_delay_alu instid0(VALU_DEP_1) | instskip(NEXT) | instid1(VALU_DEP_1)
	v_and_b32_e32 v3, 0xffffffe0, v3
	v_sub_nc_u32_e32 v3, v113, v3
	v_lshlrev_b32_e32 v113, 5, v115
	s_delay_alu instid0(VALU_DEP_1) | instskip(NEXT) | instid1(VALU_DEP_1)
	v_sub_nc_u32_e32 v3, v3, v113
	v_add_nc_u32_e32 v115, v2, v3
	s_delay_alu instid0(VALU_DEP_1) | instskip(NEXT) | instid1(VALU_DEP_1)
	v_sub_nc_u32_e32 v113, v5, v115
	v_cmp_lt_i32_e32 vcc_lo, 0, v113
	s_and_b32 exec_lo, exec_lo, vcc_lo
	s_cbranch_execz .LBB10_208
; %bb.206:                              ;   in Loop: Header=BB10_78 Depth=2
	s_trap 2
	ds_load_b64 v[2:3], v0
	v_add_nc_u32_e32 v4, v115, v4
	s_mov_b32 s14, 0
	s_delay_alu instid0(VALU_DEP_1)
	v_ashrrev_i32_e32 v5, 31, v4
.LBB10_207:                             ;   Parent Loop BB10_73 Depth=1
                                        ;     Parent Loop BB10_78 Depth=2
                                        ; =>    This Inner Loop Header: Depth=3
	s_wait_dscnt 0x0
	s_delay_alu instid0(VALU_DEP_1) | instskip(SKIP_2) | instid1(VALU_DEP_2)
	v_add_nc_u64_e32 v[118:119], v[2:3], v[4:5]
	v_sub_nc_u32_e32 v113, v113, v59
	v_add_nc_u64_e32 v[4:5], v[4:5], v[86:87]
	v_cmp_gt_i32_e32 vcc_lo, 1, v113
	flat_load_u8 v115, v[118:119] th:TH_LOAD_NT
	s_or_b32 s14, vcc_lo, s14
	s_wait_loadcnt_dscnt 0x0
	flat_store_b8 v[118:119], v115 th:TH_STORE_NT
	s_wait_xcnt 0x0
	s_and_not1_b32 exec_lo, exec_lo, s14
	s_cbranch_execnz .LBB10_207
.LBB10_208:                             ;   in Loop: Header=BB10_78 Depth=2
	s_or_b32 exec_lo, exec_lo, s13
.LBB10_209:                             ;   in Loop: Header=BB10_78 Depth=2
	v_cmp_lt_i32_e64 s13, 0, v48
	s_and_saveexec_b32 s14, s1
	s_cbranch_execz .LBB10_150
.LBB10_210:                             ;   in Loop: Header=BB10_78 Depth=2
	s_and_saveexec_b32 s15, s2
	s_delay_alu instid0(SALU_CYCLE_1)
	s_xor_b32 s15, exec_lo, s15
	s_cbranch_execz .LBB10_225
; %bb.211:                              ;   in Loop: Header=BB10_78 Depth=2
	s_and_saveexec_b32 s16, s5
	s_cbranch_execz .LBB10_224
; %bb.212:                              ;   in Loop: Header=BB10_78 Depth=2
	s_mov_b32 s43, exec_lo
	s_mov_b32 s17, exec_lo
	v_mbcnt_lo_u32_b32 v2, s43, 0
	global_wb scope:SCOPE_DEV
	s_wait_storecnt 0x0
	s_wait_loadcnt_dscnt 0x0
	global_inv scope:SCOPE_DEV
	v_cmpx_eq_u32_e32 0, v2
	s_cbranch_execz .LBB10_214
; %bb.213:                              ;   in Loop: Header=BB10_78 Depth=2
	s_bcnt1_i32_b32 s43, s43
	s_delay_alu instid0(SALU_CYCLE_1)
	v_mov_b32_e32 v48, s43
	s_wait_loadcnt 0x0
	ds_add_u64 v0, v[48:49]
	s_trap 2
.LBB10_214:                             ;   in Loop: Header=BB10_78 Depth=2
	s_or_b32 exec_lo, exec_lo, s17
	s_trap 2
	ds_load_b64 v[2:3], v0
	s_wait_dscnt 0x0
	v_add_nc_u64_e32 v[14:15], v[14:15], v[50:51]
	s_mov_b32 s17, exec_lo
	s_delay_alu instid0(VALU_DEP_1)
	v_cmpx_lt_u64_e64 v[2:3], v[14:15]
	s_cbranch_execz .LBB10_223
; %bb.215:                              ;   in Loop: Header=BB10_78 Depth=2
	s_mov_b32 s43, 0
	s_mov_b32 s46, 0
                                        ; implicit-def: $sgpr44
                                        ; implicit-def: $sgpr45
	s_branch .LBB10_217
.LBB10_216:                             ;   in Loop: Header=BB10_217 Depth=3
	s_or_b32 exec_lo, exec_lo, s56
	s_delay_alu instid0(SALU_CYCLE_1) | instskip(NEXT) | instid1(SALU_CYCLE_1)
	s_and_b32 s47, exec_lo, s57
	s_or_b32 s43, s47, s43
	s_and_not1_b32 s44, s44, exec_lo
	s_and_b32 s47, s45, exec_lo
	s_delay_alu instid0(SALU_CYCLE_1)
	s_or_b32 s44, s44, s47
	s_and_not1_b32 exec_lo, exec_lo, s43
	s_cbranch_execz .LBB10_221
.LBB10_217:                             ;   Parent Loop BB10_73 Depth=1
                                        ;     Parent Loop BB10_78 Depth=2
                                        ; =>    This Inner Loop Header: Depth=3
	s_add_co_i32 s46, s46, 1
	s_delay_alu instid0(SALU_CYCLE_1) | instskip(SKIP_1) | instid1(SALU_CYCLE_1)
	s_cmp_lg_u32 s46, 0x2710
	s_cselect_b32 s47, -1, 0
	s_and_b32 vcc_lo, exec_lo, s47
	s_cbranch_vccz .LBB10_219
; %bb.218:                              ;   in Loop: Header=BB10_217 Depth=3
	s_mov_b32 s57, -1
	s_or_b32 s45, s45, exec_lo
	s_and_saveexec_b32 s56, s47
	s_cbranch_execz .LBB10_216
	s_branch .LBB10_220
.LBB10_219:                             ;   in Loop: Header=BB10_217 Depth=3
	s_trap 2
	ds_load_b64 v[2:3], v0
	s_and_not1_b32 s47, s47, exec_lo
	s_mov_b32 s46, 0
	s_wait_loadcnt_dscnt 0x0
	flat_load_b32 v2, v[2:3] scope:SCOPE_SYS
	s_wait_loadcnt_dscnt 0x0
	global_inv scope:SCOPE_SYS
	v_cmp_eq_u32_e32 vcc_lo, 0, v2
	s_and_b32 s56, vcc_lo, exec_lo
	s_delay_alu instid0(SALU_CYCLE_1)
	s_or_b32 s47, s47, s56
	s_mov_b32 s57, -1
	s_or_b32 s45, s45, exec_lo
	s_and_saveexec_b32 s56, s47
	s_cbranch_execz .LBB10_216
.LBB10_220:                             ;   in Loop: Header=BB10_217 Depth=3
	s_sleep 1
	s_trap 2
	ds_load_b64 v[2:3], v0
	s_wait_dscnt 0x0
	s_and_not1_b32 s45, s45, exec_lo
	v_cmp_ge_u64_e32 vcc_lo, v[2:3], v[14:15]
	s_or_not1_b32 s57, vcc_lo, exec_lo
	s_branch .LBB10_216
.LBB10_221:                             ;   in Loop: Header=BB10_78 Depth=2
	s_or_b32 exec_lo, exec_lo, s43
	s_and_saveexec_b32 s43, s44
	s_delay_alu instid0(SALU_CYCLE_1)
	s_xor_b32 s43, exec_lo, s43
	s_cbranch_execz .LBB10_223
; %bb.222:                              ;   in Loop: Header=BB10_78 Depth=2
	ds_store_b32 v0, v60
	s_trap 2
.LBB10_223:                             ;   in Loop: Header=BB10_78 Depth=2
	s_or_b32 exec_lo, exec_lo, s17
	;;#ASMSTART
	s_wakeup
	;;#ASMEND
.LBB10_224:                             ;   in Loop: Header=BB10_78 Depth=2
	s_or_b32 exec_lo, exec_lo, s16
.LBB10_225:                             ;   in Loop: Header=BB10_78 Depth=2
	s_and_not1_saveexec_b32 s15, s15
	s_cbranch_execz .LBB10_227
; %bb.226:                              ;   in Loop: Header=BB10_78 Depth=2
	global_wb scope:SCOPE_DEV
	s_wait_storecnt 0x0
	s_wait_loadcnt_dscnt 0x0
	global_inv scope:SCOPE_DEV
	s_barrier_signal -1
	s_barrier_wait -1
.LBB10_227:                             ;   in Loop: Header=BB10_78 Depth=2
	s_or_b32 exec_lo, exec_lo, s15
	s_delay_alu instid0(SALU_CYCLE_1) | instskip(SKIP_1) | instid1(SALU_CYCLE_1)
	s_or_b32 exec_lo, exec_lo, s14
                                        ; implicit-def: $vgpr2
	s_and_saveexec_b32 s14, s10
	s_xor_b32 s14, exec_lo, s14
	s_cbranch_execnz .LBB10_151
.LBB10_228:                             ;   in Loop: Header=BB10_78 Depth=2
	s_and_not1_saveexec_b32 s13, s14
	s_cbranch_execz .LBB10_247
.LBB10_229:                             ;   in Loop: Header=BB10_78 Depth=2
	s_and_saveexec_b32 s14, s2
	s_delay_alu instid0(SALU_CYCLE_1)
	s_xor_b32 s14, exec_lo, s14
	s_cbranch_execz .LBB10_244
; %bb.230:                              ;   in Loop: Header=BB10_78 Depth=2
	s_and_saveexec_b32 s15, s5
	s_cbranch_execz .LBB10_243
; %bb.231:                              ;   in Loop: Header=BB10_78 Depth=2
	s_mov_b32 s17, exec_lo
	s_mov_b32 s16, exec_lo
	v_mbcnt_lo_u32_b32 v2, s17, 0
	;;#ASMSTART
	s_waitcnt lgkmcnt(0) vmcnt(0)
	;;#ASMEND
	s_delay_alu instid0(VALU_DEP_1)
	v_cmpx_eq_u32_e32 0, v2
	s_cbranch_execz .LBB10_233
; %bb.232:                              ;   in Loop: Header=BB10_78 Depth=2
	s_bcnt1_i32_b32 s17, s17
	s_delay_alu instid0(SALU_CYCLE_1)
	v_mov_b32_e32 v48, s17
	s_wait_storecnt 0x0
	s_wait_loadcnt_dscnt 0x0
	ds_add_u64 v0, v[48:49]
	s_trap 2
.LBB10_233:                             ;   in Loop: Header=BB10_78 Depth=2
	s_or_b32 exec_lo, exec_lo, s16
	s_trap 2
	ds_load_b64 v[2:3], v0
	s_wait_dscnt 0x0
	v_add_nc_u64_e32 v[14:15], v[14:15], v[50:51]
	s_mov_b32 s16, exec_lo
	s_delay_alu instid0(VALU_DEP_1)
	v_cmpx_lt_u64_e64 v[2:3], v[14:15]
	s_cbranch_execz .LBB10_242
; %bb.234:                              ;   in Loop: Header=BB10_78 Depth=2
	s_mov_b32 s17, 0
	s_mov_b32 s45, 0
                                        ; implicit-def: $sgpr43
                                        ; implicit-def: $sgpr44
	s_branch .LBB10_236
.LBB10_235:                             ;   in Loop: Header=BB10_236 Depth=3
	s_or_b32 exec_lo, exec_lo, s47
	s_delay_alu instid0(SALU_CYCLE_1) | instskip(NEXT) | instid1(SALU_CYCLE_1)
	s_and_b32 s46, exec_lo, s56
	s_or_b32 s17, s46, s17
	s_and_not1_b32 s43, s43, exec_lo
	s_and_b32 s46, s44, exec_lo
	s_delay_alu instid0(SALU_CYCLE_1)
	s_or_b32 s43, s43, s46
	s_and_not1_b32 exec_lo, exec_lo, s17
	s_cbranch_execz .LBB10_240
.LBB10_236:                             ;   Parent Loop BB10_73 Depth=1
                                        ;     Parent Loop BB10_78 Depth=2
                                        ; =>    This Inner Loop Header: Depth=3
	s_add_co_i32 s45, s45, 1
	s_delay_alu instid0(SALU_CYCLE_1) | instskip(SKIP_1) | instid1(SALU_CYCLE_1)
	s_cmp_lg_u32 s45, 0x2710
	s_cselect_b32 s46, -1, 0
	s_and_b32 vcc_lo, exec_lo, s46
	s_cbranch_vccz .LBB10_238
; %bb.237:                              ;   in Loop: Header=BB10_236 Depth=3
	s_mov_b32 s56, -1
	s_or_b32 s44, s44, exec_lo
	s_and_saveexec_b32 s47, s46
	s_cbranch_execz .LBB10_235
	s_branch .LBB10_239
.LBB10_238:                             ;   in Loop: Header=BB10_236 Depth=3
	s_trap 2
	ds_load_b64 v[2:3], v0
	s_and_not1_b32 s46, s46, exec_lo
	s_mov_b32 s45, 0
	s_wait_storecnt 0x0
	s_wait_loadcnt_dscnt 0x0
	flat_load_b32 v2, v[2:3] scope:SCOPE_SYS
	s_wait_loadcnt_dscnt 0x0
	global_inv scope:SCOPE_SYS
	v_cmp_eq_u32_e32 vcc_lo, 0, v2
	s_and_b32 s47, vcc_lo, exec_lo
	s_delay_alu instid0(SALU_CYCLE_1)
	s_or_b32 s46, s46, s47
	s_mov_b32 s56, -1
	s_or_b32 s44, s44, exec_lo
	s_and_saveexec_b32 s47, s46
	s_cbranch_execz .LBB10_235
.LBB10_239:                             ;   in Loop: Header=BB10_236 Depth=3
	s_sleep 1
	s_trap 2
	ds_load_b64 v[2:3], v0
	s_wait_dscnt 0x0
	s_and_not1_b32 s44, s44, exec_lo
	v_cmp_ge_u64_e32 vcc_lo, v[2:3], v[14:15]
	s_or_not1_b32 s56, vcc_lo, exec_lo
	s_branch .LBB10_235
.LBB10_240:                             ;   in Loop: Header=BB10_78 Depth=2
	s_or_b32 exec_lo, exec_lo, s17
	s_and_saveexec_b32 s17, s43
	s_delay_alu instid0(SALU_CYCLE_1)
	s_xor_b32 s17, exec_lo, s17
	s_cbranch_execz .LBB10_242
; %bb.241:                              ;   in Loop: Header=BB10_78 Depth=2
	ds_store_b32 v0, v60
	s_trap 2
.LBB10_242:                             ;   in Loop: Header=BB10_78 Depth=2
	s_or_b32 exec_lo, exec_lo, s16
	;;#ASMSTART
	s_wakeup
	;;#ASMEND
.LBB10_243:                             ;   in Loop: Header=BB10_78 Depth=2
	s_or_b32 exec_lo, exec_lo, s15
.LBB10_244:                             ;   in Loop: Header=BB10_78 Depth=2
	s_and_not1_saveexec_b32 s14, s14
	s_cbranch_execz .LBB10_246
; %bb.245:                              ;   in Loop: Header=BB10_78 Depth=2
	;;#ASMSTART
	s_waitcnt lgkmcnt(0) vmcnt(0)
	;;#ASMEND
	s_barrier_signal -1
	s_barrier_wait -1
.LBB10_246:                             ;   in Loop: Header=BB10_78 Depth=2
	s_or_b32 exec_lo, exec_lo, s14
	v_and_b32_e32 v2, 16, v30
.LBB10_247:                             ;   in Loop: Header=BB10_78 Depth=2
	s_or_b32 exec_lo, exec_lo, s13
	s_delay_alu instid0(SALU_CYCLE_1) | instskip(NEXT) | instid1(VALU_DEP_1)
	s_mov_b32 s13, exec_lo
	v_cmpx_ne_u32_e32 0, v2
	s_cbranch_execz .LBB10_77
; %bb.248:                              ;   in Loop: Header=BB10_78 Depth=2
	s_and_saveexec_b32 s14, s4
	s_cbranch_execz .LBB10_76
; %bb.249:                              ;   in Loop: Header=BB10_78 Depth=2
	global_wb scope:SCOPE_SYS
	s_wait_storecnt 0x0
	s_wait_loadcnt_dscnt 0x0
	flat_store_b32 v[34:35], v60 scope:SCOPE_SYS
	s_branch .LBB10_76
.LBB10_250:                             ;   in Loop: Header=BB10_73 Depth=1
	s_and_not1_saveexec_b32 s14, s28
	s_cbranch_execz .LBB10_538
.LBB10_251:                             ;   in Loop: Header=BB10_73 Depth=1
	v_dual_mov_b32 v3, 0 :: v_dual_mov_b32 v4, v73
	v_mov_b32_e32 v2, 0
	s_and_saveexec_b32 s15, s12
	s_cbranch_execz .LBB10_465
; %bb.252:                              ;   in Loop: Header=BB10_73 Depth=1
	v_dual_mov_b32 v2, 0 :: v_dual_mov_b32 v4, v73
	s_mov_b32 s28, 1
	s_mov_b32 s17, -1
	s_mov_b32 s16, 0
	s_branch .LBB10_255
.LBB10_253:                             ;   in Loop: Header=BB10_255 Depth=2
	s_wait_xcnt 0x0
	s_or_b32 exec_lo, exec_lo, s29
	v_add_nc_u64_e32 v[100:101], 2, v[100:101]
	global_wb scope:SCOPE_SYS
	s_wait_storecnt 0x0
	s_wait_loadcnt_dscnt 0x0
	flat_store_b64 v[26:27], v[100:101] scope:SCOPE_SYS
.LBB10_254:                             ;   in Loop: Header=BB10_255 Depth=2
	s_wait_xcnt 0x0
	s_or_b32 exec_lo, exec_lo, s13
	v_dual_mov_b32 v3, s28 :: v_dual_add_nc_u32 v2, v4, v2
	s_xor_b32 s13, s17, -1
	s_mov_b32 s17, 0
	s_mov_b32 s28, 2
	s_delay_alu instid0(VALU_DEP_1) | instskip(SKIP_1) | instid1(SALU_CYCLE_1)
	v_cmp_ge_i32_e32 vcc_lo, v2, v72
	s_or_b32 s13, s13, vcc_lo
	s_and_b32 s13, exec_lo, s13
	s_delay_alu instid0(SALU_CYCLE_1) | instskip(NEXT) | instid1(SALU_CYCLE_1)
	s_or_b32 s16, s13, s16
	s_and_not1_b32 exec_lo, exec_lo, s16
	s_cbranch_execz .LBB10_464
.LBB10_255:                             ;   Parent Loop BB10_73 Depth=1
                                        ; =>  This Loop Header: Depth=2
                                        ;       Child Loop BB10_263 Depth 3
                                        ;       Child Loop BB10_287 Depth 3
	;; [unrolled: 1-line block ×9, first 2 shown]
	s_and_saveexec_b32 s13, s0
	s_cbranch_execz .LBB10_257
; %bb.256:                              ;   in Loop: Header=BB10_255 Depth=2
	s_trap 2
	ds_load_b64 v[112:113], v0
	v_ashrrev_i32_e32 v3, 31, v2
	s_wait_dscnt 0x0
	v_add_nc_u64_e32 v[112:113], v[112:113], v[102:103]
	s_delay_alu instid0(VALU_DEP_1)
	v_add_nc_u64_e32 v[112:113], v[112:113], v[2:3]
	ds_store_b64 v0, v[112:113]
	ds_store_b64 v0, v[52:53]
.LBB10_257:                             ;   in Loop: Header=BB10_255 Depth=2
	s_or_b32 exec_lo, exec_lo, s13
	v_sub_nc_u32_e32 v3, v72, v2
	v_and_b32_e32 v5, 8, v30
	s_mov_b32 s29, exec_lo
	s_delay_alu instid0(VALU_DEP_2) | instskip(NEXT) | instid1(VALU_DEP_2)
	v_min_i32_e32 v4, v4, v3
	v_cmpx_ne_u32_e32 0, v5
	s_cbranch_execz .LBB10_279
; %bb.258:                              ;   in Loop: Header=BB10_255 Depth=2
	s_wait_loadcnt_dscnt 0x1
	v_add_nc_u64_e32 v[114:115], 8, v[36:37]
	v_add_nc_u64_e32 v[112:113], 2, v[100:101]
	s_mov_b32 s40, exec_lo
	s_delay_alu instid0(VALU_DEP_1)
	v_cmpx_lt_u64_e64 v[114:115], v[112:113]
	s_cbranch_execz .LBB10_270
; %bb.259:                              ;   in Loop: Header=BB10_255 Depth=2
	v_and_b32_e32 v3, 64, v30
	s_mov_b32 s41, 0
	s_mov_b32 s45, 0
                                        ; implicit-def: $sgpr42
                                        ; implicit-def: $sgpr43
                                        ; implicit-def: $sgpr44
	s_delay_alu instid0(VALU_DEP_1)
	v_cmp_eq_u32_e32 vcc_lo, 0, v3
	s_branch .LBB10_263
.LBB10_260:                             ;   in Loop: Header=BB10_263 Depth=3
	s_wait_loadcnt_dscnt 0x0
	v_add_nc_u64_e32 v[114:115], 8, v[36:37]
	s_or_b32 s56, s56, exec_lo
	s_delay_alu instid0(VALU_DEP_1)
	v_cmp_ge_u64_e64 s13, v[114:115], v[112:113]
	s_or_not1_b32 s47, s13, exec_lo
.LBB10_261:                             ;   in Loop: Header=BB10_263 Depth=3
	s_or_b32 exec_lo, exec_lo, s58
	s_delay_alu instid0(SALU_CYCLE_1)
	s_and_not1_b32 s13, s44, exec_lo
	s_and_b32 s44, s56, exec_lo
	s_and_not1_b32 s43, s43, exec_lo
	s_and_b32 s47, s47, exec_lo
	s_or_b32 s44, s13, s44
	s_or_b32 s43, s43, s47
.LBB10_262:                             ;   in Loop: Header=BB10_263 Depth=3
	s_or_b32 exec_lo, exec_lo, s46
	s_delay_alu instid0(SALU_CYCLE_1) | instskip(NEXT) | instid1(SALU_CYCLE_1)
	s_and_b32 s13, exec_lo, s43
	s_or_b32 s41, s13, s41
	s_and_not1_b32 s13, s42, exec_lo
	s_and_b32 s42, s44, exec_lo
	s_delay_alu instid0(SALU_CYCLE_1)
	s_or_b32 s42, s13, s42
	s_and_not1_b32 exec_lo, exec_lo, s41
	s_cbranch_execz .LBB10_267
.LBB10_263:                             ;   Parent Loop BB10_73 Depth=1
                                        ;     Parent Loop BB10_255 Depth=2
                                        ; =>    This Inner Loop Header: Depth=3
	s_sleep 1
	s_wait_loadcnt_dscnt 0x0
	flat_load_b64 v[36:37], v[26:27] scope:SCOPE_SYS
	s_or_b32 s44, s44, exec_lo
	s_or_b32 s43, s43, exec_lo
                                        ; implicit-def: $vgpr3
	s_wait_xcnt 0x0
	s_and_saveexec_b32 s46, vcc_lo
	s_cbranch_execz .LBB10_262
; %bb.264:                              ;   in Loop: Header=BB10_263 Depth=3
	s_cmp_lt_i32 s45, 0x270f
	s_mov_b32 s47, -1
	s_cselect_b32 s57, -1, 0
	s_cmp_gt_i32 s45, 0x270e
	s_cbranch_scc0 .LBB10_266
; %bb.265:                              ;   in Loop: Header=BB10_263 Depth=3
	s_trap 2
	ds_load_b64 v[114:115], v0
	s_and_not1_b32 s45, s57, exec_lo
	s_mov_b32 s56, 0
	s_wait_storecnt 0x0
	s_wait_loadcnt_dscnt 0x0
	flat_load_b32 v3, v[114:115] scope:SCOPE_SYS
	s_wait_loadcnt_dscnt 0x0
	global_inv scope:SCOPE_SYS
	v_cmp_eq_u32_e64 s13, 0, v3
	s_and_b32 s13, s13, exec_lo
	s_delay_alu instid0(SALU_CYCLE_1)
	s_or_b32 s57, s45, s13
	s_mov_b32 s45, 0
	s_and_saveexec_b32 s58, s57
	s_cbranch_execz .LBB10_261
	s_branch .LBB10_260
.LBB10_266:                             ;   in Loop: Header=BB10_263 Depth=3
	s_add_co_i32 s45, s45, 1
	s_mov_b32 s56, -1
                                        ; implicit-def: $vgpr3
	s_and_saveexec_b32 s58, s57
	s_cbranch_execz .LBB10_261
	s_branch .LBB10_260
.LBB10_267:                             ;   in Loop: Header=BB10_255 Depth=2
	s_or_b32 exec_lo, exec_lo, s41
	s_xor_b32 s13, s42, -1
	s_delay_alu instid0(SALU_CYCLE_1) | instskip(NEXT) | instid1(SALU_CYCLE_1)
	s_and_saveexec_b32 s41, s13
	s_xor_b32 s13, exec_lo, s41
	s_cbranch_execz .LBB10_269
; %bb.268:                              ;   in Loop: Header=BB10_255 Depth=2
	v_or_b32_e32 v30, 64, v30
	s_wait_storecnt 0x0
	s_wait_loadcnt_dscnt 0x0
	ds_store_b32 v0, v3
	s_trap 2
.LBB10_269:                             ;   in Loop: Header=BB10_255 Depth=2
	s_or_b32 exec_lo, exec_lo, s13
.LBB10_270:                             ;   in Loop: Header=BB10_255 Depth=2
	s_delay_alu instid0(SALU_CYCLE_1)
	s_or_b32 exec_lo, exec_lo, s40
	v_and_b32_e32 v3, 0x100, v30
	v_and_b32_e32 v48, 7, v100
	s_mov_b32 s13, -1
	s_mov_b32 s40, exec_lo
	;;#ASMSTART
	s_wakeup
	;;#ASMEND
                                        ; implicit-def: $vgpr100_vgpr101
	v_cmpx_ne_u32_e32 0, v3
	s_cbranch_execz .LBB10_274
; %bb.271:                              ;   in Loop: Header=BB10_255 Depth=2
	v_mad_nc_u64_u32 v[114:115], v48, 24, v[12:13]
	v_ashrrev_i32_e32 v5, 31, v4
	s_mov_b32 s41, exec_lo
                                        ; implicit-def: $vgpr100_vgpr101
	s_clause 0x1
	flat_load_b32 v3, v[114:115]
	flat_store_b64 v[114:115], v[4:5] offset:8
	s_wait_loadcnt_dscnt 0x1
	v_cmp_ne_u32_e32 vcc_lo, 1, v3
	s_wait_xcnt 0x0
	v_cmpx_eq_u32_e32 1, v3
	s_cbranch_execz .LBB10_273
; %bb.272:                              ;   in Loop: Header=BB10_255 Depth=2
	flat_load_b32 v100, v[114:115] offset:4 scope:SCOPE_SYS
	s_wait_loadcnt_dscnt 0x0
	v_ashrrev_i32_e32 v101, 31, v100
.LBB10_273:                             ;   in Loop: Header=BB10_255 Depth=2
	s_wait_xcnt 0x0
	s_or_b32 exec_lo, exec_lo, s41
	s_delay_alu instid0(SALU_CYCLE_1)
	s_or_not1_b32 s13, vcc_lo, exec_lo
.LBB10_274:                             ;   in Loop: Header=BB10_255 Depth=2
	s_or_b32 exec_lo, exec_lo, s40
	s_and_saveexec_b32 s40, s13
; %bb.275:                              ;   in Loop: Header=BB10_255 Depth=2
	v_mul_u64_e32 v[100:101], v[48:49], v[28:29]
; %bb.276:                              ;   in Loop: Header=BB10_255 Depth=2
	s_or_b32 exec_lo, exec_lo, s40
	s_delay_alu instid0(VALU_DEP_1)
	v_add_nc_u64_e32 v[100:101], v[32:33], v[100:101]
	v_and_b32_e32 v3, 0x2000, v30
	s_mov_b32 s13, exec_lo
	ds_store_b64 v0, v[100:101] offset:784
	v_cmpx_ne_u32_e32 0, v3
	s_cbranch_execz .LBB10_278
; %bb.277:                              ;   in Loop: Header=BB10_255 Depth=2
	ds_load_b64 v[100:101], v0 offset:872
	s_wait_dscnt 0x0
	v_add_nc_u64_e32 v[100:101], 1, v[100:101]
	ds_store_b64 v0, v[100:101] offset:872
.LBB10_278:                             ;   in Loop: Header=BB10_255 Depth=2
	s_or_b32 exec_lo, exec_lo, s13
	v_mov_b64_e32 v[100:101], v[112:113]
.LBB10_279:                             ;   in Loop: Header=BB10_255 Depth=2
	s_or_b32 exec_lo, exec_lo, s29
	s_and_saveexec_b32 s13, s1
	s_cbranch_execz .LBB10_298
; %bb.280:                              ;   in Loop: Header=BB10_255 Depth=2
	s_and_saveexec_b32 s29, s2
	s_delay_alu instid0(SALU_CYCLE_1)
	s_xor_b32 s29, exec_lo, s29
	s_cbranch_execz .LBB10_295
; %bb.281:                              ;   in Loop: Header=BB10_255 Depth=2
	s_and_saveexec_b32 s40, s5
	s_cbranch_execz .LBB10_294
; %bb.282:                              ;   in Loop: Header=BB10_255 Depth=2
	s_mov_b32 s42, exec_lo
	s_mov_b32 s41, exec_lo
	v_mbcnt_lo_u32_b32 v3, s42, 0
	global_wb scope:SCOPE_DEV
	s_wait_storecnt 0x0
	s_wait_loadcnt_dscnt 0x0
	global_inv scope:SCOPE_DEV
	v_cmpx_eq_u32_e32 0, v3
	s_cbranch_execz .LBB10_284
; %bb.283:                              ;   in Loop: Header=BB10_255 Depth=2
	s_bcnt1_i32_b32 s42, s42
	s_delay_alu instid0(SALU_CYCLE_1)
	v_mov_b32_e32 v48, s42
	s_wait_loadcnt 0x0
	ds_add_u64 v0, v[48:49]
	s_trap 2
.LBB10_284:                             ;   in Loop: Header=BB10_255 Depth=2
	s_or_b32 exec_lo, exec_lo, s41
	s_trap 2
	ds_load_b64 v[112:113], v0
	s_wait_dscnt 0x0
	v_add_nc_u64_e32 v[14:15], v[14:15], v[50:51]
	s_mov_b32 s41, exec_lo
	s_delay_alu instid0(VALU_DEP_1)
	v_cmpx_lt_u64_e64 v[112:113], v[14:15]
	s_cbranch_execz .LBB10_293
; %bb.285:                              ;   in Loop: Header=BB10_255 Depth=2
	s_mov_b32 s42, 0
	s_mov_b32 s45, 0
                                        ; implicit-def: $sgpr43
                                        ; implicit-def: $sgpr44
	s_branch .LBB10_287
.LBB10_286:                             ;   in Loop: Header=BB10_287 Depth=3
	s_or_b32 exec_lo, exec_lo, s47
	s_delay_alu instid0(SALU_CYCLE_1) | instskip(NEXT) | instid1(SALU_CYCLE_1)
	s_and_b32 s46, exec_lo, s56
	s_or_b32 s42, s46, s42
	s_and_not1_b32 s43, s43, exec_lo
	s_and_b32 s46, s44, exec_lo
	s_delay_alu instid0(SALU_CYCLE_1)
	s_or_b32 s43, s43, s46
	s_and_not1_b32 exec_lo, exec_lo, s42
	s_cbranch_execz .LBB10_291
.LBB10_287:                             ;   Parent Loop BB10_73 Depth=1
                                        ;     Parent Loop BB10_255 Depth=2
                                        ; =>    This Inner Loop Header: Depth=3
	s_add_co_i32 s45, s45, 1
	s_delay_alu instid0(SALU_CYCLE_1) | instskip(SKIP_1) | instid1(SALU_CYCLE_1)
	s_cmp_lg_u32 s45, 0x2710
	s_cselect_b32 s46, -1, 0
	s_and_b32 vcc_lo, exec_lo, s46
	s_cbranch_vccz .LBB10_289
; %bb.288:                              ;   in Loop: Header=BB10_287 Depth=3
	s_mov_b32 s56, -1
	s_or_b32 s44, s44, exec_lo
	s_and_saveexec_b32 s47, s46
	s_cbranch_execz .LBB10_286
	s_branch .LBB10_290
.LBB10_289:                             ;   in Loop: Header=BB10_287 Depth=3
	s_trap 2
	ds_load_b64 v[112:113], v0
	s_and_not1_b32 s46, s46, exec_lo
	s_mov_b32 s45, 0
	s_wait_loadcnt_dscnt 0x0
	flat_load_b32 v3, v[112:113] scope:SCOPE_SYS
	s_wait_loadcnt_dscnt 0x0
	global_inv scope:SCOPE_SYS
	v_cmp_eq_u32_e32 vcc_lo, 0, v3
	s_and_b32 s47, vcc_lo, exec_lo
	s_delay_alu instid0(SALU_CYCLE_1)
	s_or_b32 s46, s46, s47
	s_mov_b32 s56, -1
	s_or_b32 s44, s44, exec_lo
	s_and_saveexec_b32 s47, s46
	s_cbranch_execz .LBB10_286
.LBB10_290:                             ;   in Loop: Header=BB10_287 Depth=3
	s_sleep 1
	s_trap 2
	ds_load_b64 v[112:113], v0
	s_wait_dscnt 0x0
	s_and_not1_b32 s44, s44, exec_lo
	v_cmp_ge_u64_e32 vcc_lo, v[112:113], v[14:15]
	s_or_not1_b32 s56, vcc_lo, exec_lo
	s_branch .LBB10_286
.LBB10_291:                             ;   in Loop: Header=BB10_255 Depth=2
	s_or_b32 exec_lo, exec_lo, s42
	s_and_saveexec_b32 s42, s43
	s_delay_alu instid0(SALU_CYCLE_1)
	s_xor_b32 s42, exec_lo, s42
	s_cbranch_execz .LBB10_293
; %bb.292:                              ;   in Loop: Header=BB10_255 Depth=2
	ds_store_b32 v0, v60
	s_trap 2
.LBB10_293:                             ;   in Loop: Header=BB10_255 Depth=2
	s_or_b32 exec_lo, exec_lo, s41
	;;#ASMSTART
	s_wakeup
	;;#ASMEND
.LBB10_294:                             ;   in Loop: Header=BB10_255 Depth=2
	s_or_b32 exec_lo, exec_lo, s40
.LBB10_295:                             ;   in Loop: Header=BB10_255 Depth=2
	s_and_not1_saveexec_b32 s29, s29
	s_cbranch_execz .LBB10_297
; %bb.296:                              ;   in Loop: Header=BB10_255 Depth=2
	global_wb scope:SCOPE_DEV
	s_wait_storecnt 0x0
	s_wait_loadcnt_dscnt 0x0
	global_inv scope:SCOPE_DEV
	s_barrier_signal -1
	s_barrier_wait -1
.LBB10_297:                             ;   in Loop: Header=BB10_255 Depth=2
	s_or_b32 exec_lo, exec_lo, s29
.LBB10_298:                             ;   in Loop: Header=BB10_255 Depth=2
	s_delay_alu instid0(SALU_CYCLE_1) | instskip(SKIP_3) | instid1(VALU_DEP_1)
	s_or_b32 exec_lo, exec_lo, s13
	s_trap 2
	ds_load_b32 v3, v0
	v_and_b32_e32 v5, 0x4000, v30
	v_cmp_ne_u32_e32 vcc_lo, 0, v5
	s_and_b32 s29, s27, vcc_lo
	s_delay_alu instid0(SALU_CYCLE_1)
	s_and_saveexec_b32 s13, s29
	s_cbranch_execz .LBB10_317
; %bb.299:                              ;   in Loop: Header=BB10_255 Depth=2
	s_and_saveexec_b32 s29, s2
	s_delay_alu instid0(SALU_CYCLE_1)
	s_xor_b32 s29, exec_lo, s29
	s_cbranch_execz .LBB10_314
; %bb.300:                              ;   in Loop: Header=BB10_255 Depth=2
	s_and_saveexec_b32 s40, s5
	s_cbranch_execz .LBB10_313
; %bb.301:                              ;   in Loop: Header=BB10_255 Depth=2
	s_mov_b32 s42, exec_lo
	s_mov_b32 s41, exec_lo
	v_mbcnt_lo_u32_b32 v5, s42, 0
	global_wb scope:SCOPE_DEV
	s_wait_storecnt 0x0
	s_wait_loadcnt_dscnt 0x0
	global_inv scope:SCOPE_DEV
	v_cmpx_eq_u32_e32 0, v5
	s_cbranch_execz .LBB10_303
; %bb.302:                              ;   in Loop: Header=BB10_255 Depth=2
	s_bcnt1_i32_b32 s42, s42
	s_delay_alu instid0(SALU_CYCLE_1)
	v_mov_b32_e32 v48, s42
	s_wait_loadcnt 0x0
	ds_add_u64 v0, v[48:49]
	s_trap 2
.LBB10_303:                             ;   in Loop: Header=BB10_255 Depth=2
	s_or_b32 exec_lo, exec_lo, s41
	s_trap 2
	ds_load_b64 v[112:113], v0
	s_wait_dscnt 0x0
	v_add_nc_u64_e32 v[14:15], v[14:15], v[50:51]
	s_mov_b32 s41, exec_lo
	s_delay_alu instid0(VALU_DEP_1)
	v_cmpx_lt_u64_e64 v[112:113], v[14:15]
	s_cbranch_execz .LBB10_312
; %bb.304:                              ;   in Loop: Header=BB10_255 Depth=2
	s_mov_b32 s42, 0
	s_mov_b32 s45, 0
                                        ; implicit-def: $sgpr43
                                        ; implicit-def: $sgpr44
	s_branch .LBB10_306
.LBB10_305:                             ;   in Loop: Header=BB10_306 Depth=3
	s_or_b32 exec_lo, exec_lo, s47
	s_delay_alu instid0(SALU_CYCLE_1) | instskip(NEXT) | instid1(SALU_CYCLE_1)
	s_and_b32 s46, exec_lo, s56
	s_or_b32 s42, s46, s42
	s_and_not1_b32 s43, s43, exec_lo
	s_and_b32 s46, s44, exec_lo
	s_delay_alu instid0(SALU_CYCLE_1)
	s_or_b32 s43, s43, s46
	s_and_not1_b32 exec_lo, exec_lo, s42
	s_cbranch_execz .LBB10_310
.LBB10_306:                             ;   Parent Loop BB10_73 Depth=1
                                        ;     Parent Loop BB10_255 Depth=2
                                        ; =>    This Inner Loop Header: Depth=3
	s_add_co_i32 s45, s45, 1
	s_delay_alu instid0(SALU_CYCLE_1) | instskip(SKIP_1) | instid1(SALU_CYCLE_1)
	s_cmp_lg_u32 s45, 0x2710
	s_cselect_b32 s46, -1, 0
	s_and_b32 vcc_lo, exec_lo, s46
	s_cbranch_vccz .LBB10_308
; %bb.307:                              ;   in Loop: Header=BB10_306 Depth=3
	s_mov_b32 s56, -1
	s_or_b32 s44, s44, exec_lo
	s_and_saveexec_b32 s47, s46
	s_cbranch_execz .LBB10_305
	s_branch .LBB10_309
.LBB10_308:                             ;   in Loop: Header=BB10_306 Depth=3
	s_trap 2
	ds_load_b64 v[112:113], v0
	s_and_not1_b32 s46, s46, exec_lo
	s_mov_b32 s45, 0
	s_wait_loadcnt_dscnt 0x0
	flat_load_b32 v5, v[112:113] scope:SCOPE_SYS
	s_wait_loadcnt_dscnt 0x0
	global_inv scope:SCOPE_SYS
	v_cmp_eq_u32_e32 vcc_lo, 0, v5
	s_and_b32 s47, vcc_lo, exec_lo
	s_delay_alu instid0(SALU_CYCLE_1)
	s_or_b32 s46, s46, s47
	s_mov_b32 s56, -1
	s_or_b32 s44, s44, exec_lo
	s_and_saveexec_b32 s47, s46
	s_cbranch_execz .LBB10_305
.LBB10_309:                             ;   in Loop: Header=BB10_306 Depth=3
	s_sleep 1
	s_trap 2
	ds_load_b64 v[112:113], v0
	s_wait_dscnt 0x0
	s_and_not1_b32 s44, s44, exec_lo
	v_cmp_ge_u64_e32 vcc_lo, v[112:113], v[14:15]
	s_or_not1_b32 s56, vcc_lo, exec_lo
	s_branch .LBB10_305
.LBB10_310:                             ;   in Loop: Header=BB10_255 Depth=2
	s_or_b32 exec_lo, exec_lo, s42
	s_and_saveexec_b32 s42, s43
	s_delay_alu instid0(SALU_CYCLE_1)
	s_xor_b32 s42, exec_lo, s42
	s_cbranch_execz .LBB10_312
; %bb.311:                              ;   in Loop: Header=BB10_255 Depth=2
	ds_store_b32 v0, v60
	s_trap 2
.LBB10_312:                             ;   in Loop: Header=BB10_255 Depth=2
	s_or_b32 exec_lo, exec_lo, s41
	;;#ASMSTART
	s_wakeup
	;;#ASMEND
.LBB10_313:                             ;   in Loop: Header=BB10_255 Depth=2
	s_or_b32 exec_lo, exec_lo, s40
.LBB10_314:                             ;   in Loop: Header=BB10_255 Depth=2
	s_and_not1_saveexec_b32 s29, s29
	s_cbranch_execz .LBB10_316
; %bb.315:                              ;   in Loop: Header=BB10_255 Depth=2
	global_wb scope:SCOPE_DEV
	s_wait_storecnt 0x0
	s_wait_loadcnt_dscnt 0x0
	global_inv scope:SCOPE_DEV
	s_barrier_signal -1
	s_barrier_wait -1
.LBB10_316:                             ;   in Loop: Header=BB10_255 Depth=2
	s_or_b32 exec_lo, exec_lo, s29
.LBB10_317:                             ;   in Loop: Header=BB10_255 Depth=2
	s_delay_alu instid0(SALU_CYCLE_1)
	s_or_b32 exec_lo, exec_lo, s13
	s_trap 2
	ds_load_b64 v[112:113], v0
	s_wait_dscnt 0x0
	v_cmp_eq_u64_e32 vcc_lo, 0, v[112:113]
	s_cbranch_vccnz .LBB10_325
; %bb.318:                              ;   in Loop: Header=BB10_255 Depth=2
	s_trap 2
	ds_load_b64 v[114:115], v0
	s_wait_dscnt 0x0
	v_cmp_eq_u64_e32 vcc_lo, 0, v[114:115]
	s_cbranch_vccnz .LBB10_325
; %bb.319:                              ;   in Loop: Header=BB10_255 Depth=2
	s_mov_b32 s13, -1
	s_and_saveexec_b32 s29, s6
	s_cbranch_execz .LBB10_321
; %bb.320:                              ;   in Loop: Header=BB10_255 Depth=2
	ds_load_b32 v5, v0 offset:720
	s_wait_dscnt 0x0
	v_and_b32_e32 v5, 15, v5
	s_delay_alu instid0(VALU_DEP_1)
	v_cmp_eq_u32_e32 vcc_lo, 0, v5
	s_or_not1_b32 s13, vcc_lo, exec_lo
.LBB10_321:                             ;   in Loop: Header=BB10_255 Depth=2
	s_or_b32 exec_lo, exec_lo, s29
	s_and_saveexec_b32 s29, s11
	s_cbranch_execz .LBB10_323
; %bb.322:                              ;   in Loop: Header=BB10_255 Depth=2
	ds_load_b32 v5, v0 offset:784
	s_wait_dscnt 0x0
	v_and_b32_e32 v5, 15, v5
	s_delay_alu instid0(VALU_DEP_1) | instskip(SKIP_3) | instid1(SALU_CYCLE_1)
	v_cmp_eq_u32_e32 vcc_lo, 0, v5
	s_and_b32 s40, s13, vcc_lo
	s_and_not1_b32 s13, s13, exec_lo
	s_and_b32 s40, s40, exec_lo
	s_or_b32 s13, s13, s40
.LBB10_323:                             ;   in Loop: Header=BB10_255 Depth=2
	s_or_b32 exec_lo, exec_lo, s29
	v_cmp_eq_u32_e32 vcc_lo, 0, v3
	s_xor_b32 s13, s13, -1
	v_mov_b32_e32 v116, v62
	v_cndmask_b32_e64 v5, 0, 1, s13
	s_mov_b32 s40, -1
	v_dual_cndmask_b32 v3, 0, v4 :: v_dual_mov_b32 v118, v0
	s_delay_alu instid0(VALU_DEP_2) | instskip(NEXT) | instid1(VALU_DEP_2)
	v_cmp_ne_u32_e32 vcc_lo, 0, v5
	v_dual_mov_b32 v5, 0 :: v_dual_mov_b32 v48, v3
	s_cbranch_vccz .LBB10_330
; %bb.324:                              ;   in Loop: Header=BB10_255 Depth=2
	s_and_saveexec_b32 s13, s40
	s_cbranch_execnz .LBB10_343
	s_branch .LBB10_351
.LBB10_325:                             ;   in Loop: Header=BB10_255 Depth=2
	s_mov_b32 s13, 0
	s_and_saveexec_b32 s29, s1
	s_cbranch_execnz .LBB10_352
.LBB10_326:                             ;   in Loop: Header=BB10_255 Depth=2
	s_or_b32 exec_lo, exec_lo, s29
                                        ; implicit-def: $vgpr3
	s_and_saveexec_b32 s29, s10
	s_delay_alu instid0(SALU_CYCLE_1)
	s_xor_b32 s29, exec_lo, s29
	s_cbranch_execz .LBB10_370
.LBB10_327:                             ;   in Loop: Header=BB10_255 Depth=2
	v_and_b32_e32 v3, 16, v30
	s_delay_alu instid0(VALU_DEP_1) | instskip(SKIP_2) | instid1(SALU_CYCLE_1)
	v_cmp_ne_u32_e32 vcc_lo, 0, v3
	v_and_b32_e32 v3, 16, v30
	s_and_b32 s40, vcc_lo, s13
	s_and_saveexec_b32 s13, s40
	s_cbranch_execz .LBB10_329
; %bb.328:                              ;   in Loop: Header=BB10_255 Depth=2
	v_mov_b32_e32 v3, 1
	global_wb scope:SCOPE_SYS
	s_wait_storecnt 0x0
	s_wait_loadcnt_dscnt 0x0
	global_inv scope:SCOPE_SYS
.LBB10_329:                             ;   in Loop: Header=BB10_255 Depth=2
	s_or_b32 exec_lo, exec_lo, s13
	s_and_not1_saveexec_b32 s13, s29
	s_cbranch_execz .LBB10_389
	s_branch .LBB10_371
.LBB10_330:                             ;   in Loop: Header=BB10_255 Depth=2
	v_ashrrev_i32_e32 v5, 31, v3
	s_mov_b32 s13, exec_lo
	s_delay_alu instid0(VALU_DEP_1) | instskip(NEXT) | instid1(VALU_DEP_1)
	v_lshrrev_b32_e32 v5, 21, v5
	v_add_nc_u32_e32 v5, v3, v5
	s_delay_alu instid0(VALU_DEP_1) | instskip(NEXT) | instid1(VALU_DEP_1)
	v_ashrrev_i32_e32 v5, 11, v5
	v_sub_nc_u32_e32 v40, v5, v62
	s_delay_alu instid0(VALU_DEP_1)
	v_cmpx_lt_i32_e32 0, v40
	s_cbranch_execz .LBB10_334
; %bb.331:                              ;   in Loop: Header=BB10_255 Depth=2
	v_mov_b64_e32 v[116:117], v[114:115]
	v_mov_b64_e32 v[118:119], v[112:113]
	s_mov_b32 s29, 0
.LBB10_332:                             ;   Parent Loop BB10_73 Depth=1
                                        ;     Parent Loop BB10_255 Depth=2
                                        ; =>    This Inner Loop Header: Depth=3
	s_delay_alu instid0(VALU_DEP_1)
	v_add_nc_u64_e32 v[46:47], v[98:99], v[118:119]
	v_sub_nc_u32_e32 v40, v40, v50
	v_add_nc_u64_e32 v[118:119], v[118:119], v[80:81]
	s_clause 0x3
	global_load_b128 v[42:45], v[46:47], off th:TH_LOAD_NT
	global_load_b128 v[74:77], v[46:47], off offset:512 th:TH_LOAD_NT
	global_load_b128 v[88:91], v[46:47], off offset:1024 th:TH_LOAD_NT
	;; [unrolled: 1-line block ×3, first 2 shown]
	s_wait_xcnt 0x0
	v_add_nc_u64_e32 v[46:47], v[98:99], v[116:117]
	v_cmp_gt_i32_e32 vcc_lo, 1, v40
	v_add_nc_u64_e32 v[116:117], v[116:117], v[80:81]
	s_wait_loadcnt 0x3
	global_store_b128 v[46:47], v[42:45], off th:TH_STORE_NT
	s_wait_loadcnt 0x2
	global_store_b128 v[46:47], v[74:77], off offset:512 th:TH_STORE_NT
	s_wait_loadcnt 0x1
	global_store_b128 v[46:47], v[88:91], off offset:1024 th:TH_STORE_NT
	;; [unrolled: 2-line block ×3, first 2 shown]
	s_or_b32 s29, vcc_lo, s29
	s_wait_xcnt 0x0
	s_and_not1_b32 exec_lo, exec_lo, s29
	s_cbranch_execnz .LBB10_332
; %bb.333:                              ;   in Loop: Header=BB10_255 Depth=2
	s_or_b32 exec_lo, exec_lo, s29
.LBB10_334:                             ;   in Loop: Header=BB10_255 Depth=2
	s_delay_alu instid0(SALU_CYCLE_1) | instskip(SKIP_3) | instid1(VALU_DEP_1)
	s_or_b32 exec_lo, exec_lo, s13
	v_dual_lshlrev_b32 v119, 11, v5 :: v_dual_mov_b32 v5, 0
	s_mov_b32 s40, 0
	s_mov_b32 s29, exec_lo
                                        ; implicit-def: $vgpr48
                                        ; implicit-def: $vgpr118
                                        ; implicit-def: $vgpr116
	v_cmpx_ne_u32_e64 v3, v119
	s_cbranch_execz .LBB10_342
; %bb.335:                              ;   in Loop: Header=BB10_255 Depth=2
	v_dual_lshlrev_b32 v5, 5, v40 :: v_dual_sub_nc_u32 v116, v3, v119
	s_mov_b32 s40, exec_lo
	s_delay_alu instid0(VALU_DEP_1) | instskip(NEXT) | instid1(VALU_DEP_1)
	v_dual_sub_nc_u32 v5, v63, v5 :: v_dual_ashrrev_i32 v117, 31, v116
	v_ashrrev_i32_e32 v48, 31, v5
	s_delay_alu instid0(VALU_DEP_1) | instskip(NEXT) | instid1(VALU_DEP_1)
	v_dual_lshrrev_b32 v117, 23, v117 :: v_dual_lshrrev_b32 v48, 27, v48
	v_add_nc_u32_e32 v48, v5, v48
	s_delay_alu instid0(VALU_DEP_1) | instskip(NEXT) | instid1(VALU_DEP_1)
	v_and_b32_e32 v118, 0xffffffe0, v48
	v_dual_add_nc_u32 v117, v116, v117 :: v_dual_sub_nc_u32 v41, v5, v118
	s_delay_alu instid0(VALU_DEP_1) | instskip(SKIP_1) | instid1(VALU_DEP_2)
	v_and_b32_e32 v40, 0xfffffe00, v117
	v_dual_ashrrev_i32 v118, 5, v48 :: v_dual_ashrrev_i32 v117, 9, v117
	v_dual_lshlrev_b32 v5, 4, v41 :: v_dual_sub_nc_u32 v42, v116, v40
	s_delay_alu instid0(VALU_DEP_1) | instskip(NEXT) | instid1(VALU_DEP_2)
	v_lshl_add_u32 v48, v118, 9, v5
	v_cmp_lt_i32_e32 vcc_lo, 15, v42
	s_delay_alu instid0(VALU_DEP_4) | instskip(NEXT) | instid1(VALU_DEP_1)
	v_add_co_ci_u32_e64 v117, null, 0, v117, vcc_lo
	v_dual_sub_nc_u32 v5, v116, v48 :: v_dual_sub_nc_u32 v43, v117, v118
	s_delay_alu instid0(VALU_DEP_1)
	v_cmpx_lt_i32_e32 15, v5
	s_cbranch_execz .LBB10_339
; %bb.336:                              ;   in Loop: Header=BB10_255 Depth=2
	v_add_nc_u32_e32 v116, v48, v119
	s_mov_b32 s41, 0
	s_delay_alu instid0(VALU_DEP_1)
	v_ashrrev_i32_e32 v117, 31, v116
.LBB10_337:                             ;   Parent Loop BB10_73 Depth=1
                                        ;     Parent Loop BB10_255 Depth=2
                                        ; =>    This Inner Loop Header: Depth=3
	s_delay_alu instid0(VALU_DEP_1) | instskip(SKIP_3) | instid1(VALU_DEP_3)
	v_add_nc_u64_e32 v[44:45], v[112:113], v[116:117]
	v_dual_sub_nc_u32 v5, v5, v68 :: v_dual_sub_nc_u32 v43, v43, v50
	v_add_nc_u64_e32 v[56:57], v[114:115], v[116:117]
	v_add_nc_u64_e32 v[116:117], v[116:117], v[96:97]
	v_cmp_gt_i32_e64 s13, 16, v5
	global_load_b128 v[44:47], v[44:45], off th:TH_LOAD_NT
	s_or_b32 s41, s13, s41
	s_wait_loadcnt 0x0
	global_store_b128 v[56:57], v[44:47], off th:TH_STORE_NT
	s_wait_xcnt 0x0
	s_and_not1_b32 exec_lo, exec_lo, s41
	s_cbranch_execnz .LBB10_337
; %bb.338:                              ;   in Loop: Header=BB10_255 Depth=2
	s_or_b32 exec_lo, exec_lo, s41
.LBB10_339:                             ;   in Loop: Header=BB10_255 Depth=2
	s_delay_alu instid0(SALU_CYCLE_1) | instskip(SKIP_3) | instid1(VALU_DEP_1)
	s_or_b32 exec_lo, exec_lo, s40
	v_dual_mov_b32 v5, 0 :: v_dual_bitop2_b32 v117, 15, v3 bitop3:0x40
	s_mov_b32 s40, 0
	s_mov_b32 s41, exec_lo
                                        ; implicit-def: $vgpr118
                                        ; implicit-def: $vgpr116
	v_cndmask_b32_e32 v48, v42, v117, vcc_lo
	s_delay_alu instid0(VALU_DEP_1)
	v_cmpx_ne_u32_e32 0, v48
	s_cbranch_execz .LBB10_341
; %bb.340:                              ;   in Loop: Header=BB10_255 Depth=2
	v_cmp_lt_i32_e64 s13, 0, v43
	s_mov_b32 s40, exec_lo
	v_dual_sub_nc_u32 v116, v42, v117 :: v_dual_cndmask_b32 v5, 0, v50, s13
	s_delay_alu instid0(VALU_DEP_1) | instskip(NEXT) | instid1(VALU_DEP_1)
	v_dual_cndmask_b32 v116, 0, v116 :: v_dual_sub_nc_u32 v5, v5, v43
	v_lshl_add_u32 v118, v5, 5, v41
	s_delay_alu instid0(VALU_DEP_1) | instskip(NEXT) | instid1(VALU_DEP_1)
	v_ashrrev_i32_e32 v5, 31, v118
	v_lshrrev_b32_e32 v5, 27, v5
	s_delay_alu instid0(VALU_DEP_1) | instskip(SKIP_1) | instid1(VALU_DEP_2)
	v_add_nc_u32_e32 v117, v118, v5
	v_add3_u32 v5, v40, v119, v116
	v_ashrrev_i32_e32 v116, 5, v117
.LBB10_341:                             ;   in Loop: Header=BB10_255 Depth=2
	s_or_b32 exec_lo, exec_lo, s41
	s_delay_alu instid0(SALU_CYCLE_1)
	s_and_b32 s40, s40, exec_lo
.LBB10_342:                             ;   in Loop: Header=BB10_255 Depth=2
	s_or_b32 exec_lo, exec_lo, s29
	s_and_saveexec_b32 s13, s40
	s_cbranch_execz .LBB10_351
.LBB10_343:                             ;   in Loop: Header=BB10_255 Depth=2
	v_ashrrev_i32_e32 v117, 31, v48
	s_mov_b32 s29, exec_lo
	s_delay_alu instid0(VALU_DEP_1) | instskip(NEXT) | instid1(VALU_DEP_1)
	v_lshrrev_b32_e32 v117, 23, v117
	v_add_nc_u32_e32 v117, v48, v117
	s_delay_alu instid0(VALU_DEP_1) | instskip(NEXT) | instid1(VALU_DEP_1)
	v_ashrrev_i32_e32 v40, 9, v117
	v_sub_nc_u32_e32 v119, v40, v116
	s_delay_alu instid0(VALU_DEP_1)
	v_cmpx_lt_i32_e32 0, v119
	s_cbranch_execz .LBB10_347
; %bb.344:                              ;   in Loop: Header=BB10_255 Depth=2
	v_dual_ashrrev_i32 v117, 31, v118 :: v_dual_lshlrev_b32 v116, 9, v116
	s_mov_b32 s40, 0
	s_delay_alu instid0(VALU_DEP_1) | instskip(NEXT) | instid1(VALU_DEP_1)
	v_lshrrev_b32_e32 v117, 27, v117
	v_add_nc_u32_e32 v117, v118, v117
	s_delay_alu instid0(VALU_DEP_1) | instskip(NEXT) | instid1(VALU_DEP_1)
	v_and_b32_e32 v117, 0xffffffe0, v117
	v_sub_nc_u32_e32 v117, v118, v117
	s_delay_alu instid0(VALU_DEP_1) | instskip(NEXT) | instid1(VALU_DEP_1)
	v_add3_u32 v116, v5, v117, v116
	v_ashrrev_i32_e32 v117, 31, v116
.LBB10_345:                             ;   Parent Loop BB10_73 Depth=1
                                        ;     Parent Loop BB10_255 Depth=2
                                        ; =>    This Inner Loop Header: Depth=3
	s_delay_alu instid0(VALU_DEP_1)
	v_add_nc_u64_e32 v[42:43], v[116:117], v[112:113]
	v_sub_nc_u32_e32 v119, v119, v50
	v_add_nc_u64_e32 v[112:113], v[112:113], v[96:97]
	s_clause 0xf
	flat_load_u8 v41, v[42:43] th:TH_LOAD_NT
	flat_load_u8 v44, v[42:43] offset:32 th:TH_LOAD_NT
	flat_load_u8 v45, v[42:43] offset:64 th:TH_LOAD_NT
	;; [unrolled: 1-line block ×15, first 2 shown]
	s_wait_xcnt 0x0
	v_add_nc_u64_e32 v[42:43], v[116:117], v[114:115]
	v_add_nc_u64_e32 v[114:115], v[114:115], v[96:97]
	v_cmp_gt_i32_e32 vcc_lo, 1, v119
	s_wait_loadcnt_dscnt 0xf0f
	flat_store_b8 v[42:43], v41 th:TH_STORE_NT
	s_wait_loadcnt_dscnt 0xe0f
	flat_store_b8 v[42:43], v44 offset:32 th:TH_STORE_NT
	s_wait_loadcnt_dscnt 0xd0f
	flat_store_b8 v[42:43], v45 offset:64 th:TH_STORE_NT
	;; [unrolled: 2-line block ×15, first 2 shown]
	s_or_b32 s40, vcc_lo, s40
	s_wait_xcnt 0x0
	s_and_not1_b32 exec_lo, exec_lo, s40
	s_cbranch_execnz .LBB10_345
; %bb.346:                              ;   in Loop: Header=BB10_255 Depth=2
	s_or_b32 exec_lo, exec_lo, s40
.LBB10_347:                             ;   in Loop: Header=BB10_255 Depth=2
	s_delay_alu instid0(SALU_CYCLE_1) | instskip(SKIP_1) | instid1(VALU_DEP_1)
	s_or_b32 exec_lo, exec_lo, s29
	v_lshlrev_b32_e32 v112, 9, v40
	v_cmp_ne_u32_e32 vcc_lo, v48, v112
	s_and_b32 exec_lo, exec_lo, vcc_lo
	s_cbranch_execz .LBB10_351
; %bb.348:                              ;   in Loop: Header=BB10_255 Depth=2
	v_dual_ashrrev_i32 v113, 31, v118 :: v_dual_lshlrev_b32 v114, 5, v119
	s_delay_alu instid0(VALU_DEP_1) | instskip(NEXT) | instid1(VALU_DEP_1)
	v_lshrrev_b32_e32 v113, 27, v113
	v_add_nc_u32_e32 v113, v118, v113
	s_delay_alu instid0(VALU_DEP_1) | instskip(NEXT) | instid1(VALU_DEP_1)
	v_and_b32_e32 v113, 0xffffffe0, v113
	v_sub_nc_u32_e32 v113, v118, v113
	s_delay_alu instid0(VALU_DEP_1) | instskip(NEXT) | instid1(VALU_DEP_1)
	v_sub_nc_u32_e32 v113, v113, v114
	v_add_nc_u32_e32 v114, v112, v113
	s_delay_alu instid0(VALU_DEP_1) | instskip(NEXT) | instid1(VALU_DEP_1)
	v_sub_nc_u32_e32 v48, v48, v114
	v_cmp_lt_i32_e32 vcc_lo, 0, v48
	s_and_b32 exec_lo, exec_lo, vcc_lo
	s_cbranch_execz .LBB10_351
; %bb.349:                              ;   in Loop: Header=BB10_255 Depth=2
	s_trap 2
	ds_load_b64 v[112:113], v0
	v_add_nc_u32_e32 v114, v114, v5
	s_mov_b32 s29, 0
	s_delay_alu instid0(VALU_DEP_1)
	v_ashrrev_i32_e32 v115, 31, v114
.LBB10_350:                             ;   Parent Loop BB10_73 Depth=1
                                        ;     Parent Loop BB10_255 Depth=2
                                        ; =>    This Inner Loop Header: Depth=3
	s_wait_dscnt 0x0
	s_delay_alu instid0(VALU_DEP_1) | instskip(SKIP_2) | instid1(VALU_DEP_2)
	v_add_nc_u64_e32 v[116:117], v[112:113], v[114:115]
	v_sub_nc_u32_e32 v48, v48, v59
	v_add_nc_u64_e32 v[114:115], v[114:115], v[86:87]
	v_cmp_gt_i32_e32 vcc_lo, 1, v48
	flat_load_u8 v5, v[116:117] th:TH_LOAD_NT
	s_or_b32 s29, vcc_lo, s29
	s_wait_loadcnt_dscnt 0x0
	flat_store_b8 v[116:117], v5 th:TH_STORE_NT
	s_wait_xcnt 0x0
	s_and_not1_b32 exec_lo, exec_lo, s29
	s_cbranch_execnz .LBB10_350
.LBB10_351:                             ;   in Loop: Header=BB10_255 Depth=2
	s_or_b32 exec_lo, exec_lo, s13
	v_cmp_lt_i32_e64 s13, 0, v3
	s_and_saveexec_b32 s29, s1
	s_cbranch_execz .LBB10_326
.LBB10_352:                             ;   in Loop: Header=BB10_255 Depth=2
	s_and_saveexec_b32 s40, s2
	s_delay_alu instid0(SALU_CYCLE_1)
	s_xor_b32 s40, exec_lo, s40
	s_cbranch_execz .LBB10_367
; %bb.353:                              ;   in Loop: Header=BB10_255 Depth=2
	s_and_saveexec_b32 s41, s5
	s_cbranch_execz .LBB10_366
; %bb.354:                              ;   in Loop: Header=BB10_255 Depth=2
	s_mov_b32 s43, exec_lo
	s_mov_b32 s42, exec_lo
	v_mbcnt_lo_u32_b32 v3, s43, 0
	global_wb scope:SCOPE_DEV
	s_wait_storecnt 0x0
	s_wait_loadcnt_dscnt 0x0
	global_inv scope:SCOPE_DEV
	v_cmpx_eq_u32_e32 0, v3
	s_cbranch_execz .LBB10_356
; %bb.355:                              ;   in Loop: Header=BB10_255 Depth=2
	s_bcnt1_i32_b32 s43, s43
	s_delay_alu instid0(SALU_CYCLE_1)
	v_mov_b32_e32 v48, s43
	s_wait_loadcnt 0x0
	ds_add_u64 v0, v[48:49]
	s_trap 2
.LBB10_356:                             ;   in Loop: Header=BB10_255 Depth=2
	s_or_b32 exec_lo, exec_lo, s42
	s_trap 2
	ds_load_b64 v[112:113], v0
	s_wait_dscnt 0x0
	v_add_nc_u64_e32 v[14:15], v[14:15], v[50:51]
	s_mov_b32 s42, exec_lo
	s_delay_alu instid0(VALU_DEP_1)
	v_cmpx_lt_u64_e64 v[112:113], v[14:15]
	s_cbranch_execz .LBB10_365
; %bb.357:                              ;   in Loop: Header=BB10_255 Depth=2
	s_mov_b32 s43, 0
	s_mov_b32 s46, 0
                                        ; implicit-def: $sgpr44
                                        ; implicit-def: $sgpr45
	s_branch .LBB10_359
.LBB10_358:                             ;   in Loop: Header=BB10_359 Depth=3
	s_or_b32 exec_lo, exec_lo, s56
	s_delay_alu instid0(SALU_CYCLE_1) | instskip(NEXT) | instid1(SALU_CYCLE_1)
	s_and_b32 s47, exec_lo, s57
	s_or_b32 s43, s47, s43
	s_and_not1_b32 s44, s44, exec_lo
	s_and_b32 s47, s45, exec_lo
	s_delay_alu instid0(SALU_CYCLE_1)
	s_or_b32 s44, s44, s47
	s_and_not1_b32 exec_lo, exec_lo, s43
	s_cbranch_execz .LBB10_363
.LBB10_359:                             ;   Parent Loop BB10_73 Depth=1
                                        ;     Parent Loop BB10_255 Depth=2
                                        ; =>    This Inner Loop Header: Depth=3
	s_add_co_i32 s46, s46, 1
	s_delay_alu instid0(SALU_CYCLE_1) | instskip(SKIP_1) | instid1(SALU_CYCLE_1)
	s_cmp_lg_u32 s46, 0x2710
	s_cselect_b32 s47, -1, 0
	s_and_b32 vcc_lo, exec_lo, s47
	s_cbranch_vccz .LBB10_361
; %bb.360:                              ;   in Loop: Header=BB10_359 Depth=3
	s_mov_b32 s57, -1
	s_or_b32 s45, s45, exec_lo
	s_and_saveexec_b32 s56, s47
	s_cbranch_execz .LBB10_358
	s_branch .LBB10_362
.LBB10_361:                             ;   in Loop: Header=BB10_359 Depth=3
	s_trap 2
	ds_load_b64 v[112:113], v0
	s_and_not1_b32 s47, s47, exec_lo
	s_mov_b32 s46, 0
	s_wait_loadcnt_dscnt 0x0
	flat_load_b32 v3, v[112:113] scope:SCOPE_SYS
	s_wait_loadcnt_dscnt 0x0
	global_inv scope:SCOPE_SYS
	v_cmp_eq_u32_e32 vcc_lo, 0, v3
	s_and_b32 s56, vcc_lo, exec_lo
	s_delay_alu instid0(SALU_CYCLE_1)
	s_or_b32 s47, s47, s56
	s_mov_b32 s57, -1
	s_or_b32 s45, s45, exec_lo
	s_and_saveexec_b32 s56, s47
	s_cbranch_execz .LBB10_358
.LBB10_362:                             ;   in Loop: Header=BB10_359 Depth=3
	s_sleep 1
	s_trap 2
	ds_load_b64 v[112:113], v0
	s_wait_dscnt 0x0
	s_and_not1_b32 s45, s45, exec_lo
	v_cmp_ge_u64_e32 vcc_lo, v[112:113], v[14:15]
	s_or_not1_b32 s57, vcc_lo, exec_lo
	s_branch .LBB10_358
.LBB10_363:                             ;   in Loop: Header=BB10_255 Depth=2
	s_or_b32 exec_lo, exec_lo, s43
	s_and_saveexec_b32 s43, s44
	s_delay_alu instid0(SALU_CYCLE_1)
	s_xor_b32 s43, exec_lo, s43
	s_cbranch_execz .LBB10_365
; %bb.364:                              ;   in Loop: Header=BB10_255 Depth=2
	ds_store_b32 v0, v60
	s_trap 2
.LBB10_365:                             ;   in Loop: Header=BB10_255 Depth=2
	s_or_b32 exec_lo, exec_lo, s42
	;;#ASMSTART
	s_wakeup
	;;#ASMEND
.LBB10_366:                             ;   in Loop: Header=BB10_255 Depth=2
	s_or_b32 exec_lo, exec_lo, s41
.LBB10_367:                             ;   in Loop: Header=BB10_255 Depth=2
	s_and_not1_saveexec_b32 s40, s40
	s_cbranch_execz .LBB10_369
; %bb.368:                              ;   in Loop: Header=BB10_255 Depth=2
	global_wb scope:SCOPE_DEV
	s_wait_storecnt 0x0
	s_wait_loadcnt_dscnt 0x0
	global_inv scope:SCOPE_DEV
	s_barrier_signal -1
	s_barrier_wait -1
.LBB10_369:                             ;   in Loop: Header=BB10_255 Depth=2
	s_or_b32 exec_lo, exec_lo, s40
	s_delay_alu instid0(SALU_CYCLE_1) | instskip(SKIP_1) | instid1(SALU_CYCLE_1)
	s_or_b32 exec_lo, exec_lo, s29
                                        ; implicit-def: $vgpr3
	s_and_saveexec_b32 s29, s10
	s_xor_b32 s29, exec_lo, s29
	s_cbranch_execnz .LBB10_327
.LBB10_370:                             ;   in Loop: Header=BB10_255 Depth=2
	s_and_not1_saveexec_b32 s13, s29
	s_cbranch_execz .LBB10_389
.LBB10_371:                             ;   in Loop: Header=BB10_255 Depth=2
	s_and_saveexec_b32 s29, s2
	s_delay_alu instid0(SALU_CYCLE_1)
	s_xor_b32 s29, exec_lo, s29
	s_cbranch_execz .LBB10_386
; %bb.372:                              ;   in Loop: Header=BB10_255 Depth=2
	s_and_saveexec_b32 s40, s5
	s_cbranch_execz .LBB10_385
; %bb.373:                              ;   in Loop: Header=BB10_255 Depth=2
	s_mov_b32 s42, exec_lo
	s_mov_b32 s41, exec_lo
	v_mbcnt_lo_u32_b32 v3, s42, 0
	;;#ASMSTART
	s_waitcnt lgkmcnt(0) vmcnt(0)
	;;#ASMEND
	s_delay_alu instid0(VALU_DEP_1)
	v_cmpx_eq_u32_e32 0, v3
	s_cbranch_execz .LBB10_375
; %bb.374:                              ;   in Loop: Header=BB10_255 Depth=2
	s_bcnt1_i32_b32 s42, s42
	s_delay_alu instid0(SALU_CYCLE_1)
	v_mov_b32_e32 v48, s42
	s_wait_storecnt 0x0
	s_wait_loadcnt_dscnt 0x0
	ds_add_u64 v0, v[48:49]
	s_trap 2
.LBB10_375:                             ;   in Loop: Header=BB10_255 Depth=2
	s_or_b32 exec_lo, exec_lo, s41
	s_trap 2
	ds_load_b64 v[112:113], v0
	s_wait_dscnt 0x0
	v_add_nc_u64_e32 v[14:15], v[14:15], v[50:51]
	s_mov_b32 s41, exec_lo
	s_delay_alu instid0(VALU_DEP_1)
	v_cmpx_lt_u64_e64 v[112:113], v[14:15]
	s_cbranch_execz .LBB10_384
; %bb.376:                              ;   in Loop: Header=BB10_255 Depth=2
	s_mov_b32 s42, 0
	s_mov_b32 s45, 0
                                        ; implicit-def: $sgpr43
                                        ; implicit-def: $sgpr44
	s_branch .LBB10_378
.LBB10_377:                             ;   in Loop: Header=BB10_378 Depth=3
	s_or_b32 exec_lo, exec_lo, s47
	s_delay_alu instid0(SALU_CYCLE_1) | instskip(NEXT) | instid1(SALU_CYCLE_1)
	s_and_b32 s46, exec_lo, s56
	s_or_b32 s42, s46, s42
	s_and_not1_b32 s43, s43, exec_lo
	s_and_b32 s46, s44, exec_lo
	s_delay_alu instid0(SALU_CYCLE_1)
	s_or_b32 s43, s43, s46
	s_and_not1_b32 exec_lo, exec_lo, s42
	s_cbranch_execz .LBB10_382
.LBB10_378:                             ;   Parent Loop BB10_73 Depth=1
                                        ;     Parent Loop BB10_255 Depth=2
                                        ; =>    This Inner Loop Header: Depth=3
	s_add_co_i32 s45, s45, 1
	s_delay_alu instid0(SALU_CYCLE_1) | instskip(SKIP_1) | instid1(SALU_CYCLE_1)
	s_cmp_lg_u32 s45, 0x2710
	s_cselect_b32 s46, -1, 0
	s_and_b32 vcc_lo, exec_lo, s46
	s_cbranch_vccz .LBB10_380
; %bb.379:                              ;   in Loop: Header=BB10_378 Depth=3
	s_mov_b32 s56, -1
	s_or_b32 s44, s44, exec_lo
	s_and_saveexec_b32 s47, s46
	s_cbranch_execz .LBB10_377
	s_branch .LBB10_381
.LBB10_380:                             ;   in Loop: Header=BB10_378 Depth=3
	s_trap 2
	ds_load_b64 v[112:113], v0
	s_and_not1_b32 s46, s46, exec_lo
	s_mov_b32 s45, 0
	s_wait_storecnt 0x0
	s_wait_loadcnt_dscnt 0x0
	flat_load_b32 v3, v[112:113] scope:SCOPE_SYS
	s_wait_loadcnt_dscnt 0x0
	global_inv scope:SCOPE_SYS
	v_cmp_eq_u32_e32 vcc_lo, 0, v3
	s_and_b32 s47, vcc_lo, exec_lo
	s_delay_alu instid0(SALU_CYCLE_1)
	s_or_b32 s46, s46, s47
	s_mov_b32 s56, -1
	s_or_b32 s44, s44, exec_lo
	s_and_saveexec_b32 s47, s46
	s_cbranch_execz .LBB10_377
.LBB10_381:                             ;   in Loop: Header=BB10_378 Depth=3
	s_sleep 1
	s_trap 2
	ds_load_b64 v[112:113], v0
	s_wait_dscnt 0x0
	s_and_not1_b32 s44, s44, exec_lo
	v_cmp_ge_u64_e32 vcc_lo, v[112:113], v[14:15]
	s_or_not1_b32 s56, vcc_lo, exec_lo
	s_branch .LBB10_377
.LBB10_382:                             ;   in Loop: Header=BB10_255 Depth=2
	s_or_b32 exec_lo, exec_lo, s42
	s_and_saveexec_b32 s42, s43
	s_delay_alu instid0(SALU_CYCLE_1)
	s_xor_b32 s42, exec_lo, s42
	s_cbranch_execz .LBB10_384
; %bb.383:                              ;   in Loop: Header=BB10_255 Depth=2
	ds_store_b32 v0, v60
	s_trap 2
.LBB10_384:                             ;   in Loop: Header=BB10_255 Depth=2
	s_or_b32 exec_lo, exec_lo, s41
	;;#ASMSTART
	s_wakeup
	;;#ASMEND
.LBB10_385:                             ;   in Loop: Header=BB10_255 Depth=2
	s_or_b32 exec_lo, exec_lo, s40
.LBB10_386:                             ;   in Loop: Header=BB10_255 Depth=2
	s_and_not1_saveexec_b32 s29, s29
	s_cbranch_execz .LBB10_388
; %bb.387:                              ;   in Loop: Header=BB10_255 Depth=2
	;;#ASMSTART
	s_waitcnt lgkmcnt(0) vmcnt(0)
	;;#ASMEND
	s_barrier_signal -1
	s_barrier_wait -1
.LBB10_388:                             ;   in Loop: Header=BB10_255 Depth=2
	s_or_b32 exec_lo, exec_lo, s29
	v_and_b32_e32 v3, 16, v30
.LBB10_389:                             ;   in Loop: Header=BB10_255 Depth=2
	s_or_b32 exec_lo, exec_lo, s13
	s_delay_alu instid0(SALU_CYCLE_1) | instskip(NEXT) | instid1(VALU_DEP_1)
	s_mov_b32 s13, exec_lo
	v_cmpx_ne_u32_e32 0, v3
	s_cbranch_execz .LBB10_254
; %bb.390:                              ;   in Loop: Header=BB10_255 Depth=2
	s_and_saveexec_b32 s29, s4
	s_cbranch_execz .LBB10_253
; %bb.391:                              ;   in Loop: Header=BB10_255 Depth=2
	global_wb scope:SCOPE_SYS
	s_wait_storecnt 0x0
	s_wait_loadcnt_dscnt 0x0
	flat_store_b32 v[34:35], v60 scope:SCOPE_SYS
	s_branch .LBB10_253
.LBB10_392:                             ;   in Loop: Header=BB10_73 Depth=1
	s_or_b32 exec_lo, exec_lo, s40
.LBB10_393:                             ;   in Loop: Header=BB10_73 Depth=1
	s_delay_alu instid0(SALU_CYCLE_1) | instskip(NEXT) | instid1(SALU_CYCLE_1)
	s_or_b32 exec_lo, exec_lo, s29
	s_mov_b32 s14, exec_lo
	v_cmpx_gt_i32_e32 2, v2
	s_cbranch_execz .LBB10_537
; %bb.394:                              ;   in Loop: Header=BB10_73 Depth=1
	v_cmp_eq_u32_e64 s16, 0, v2
	s_mov_b32 s15, 0
	s_branch .LBB10_397
.LBB10_395:                             ;   in Loop: Header=BB10_397 Depth=2
	s_wait_xcnt 0x0
	s_or_b32 exec_lo, exec_lo, s16
	v_add_nc_u64_e32 v[100:101], 2, v[100:101]
	global_wb scope:SCOPE_SYS
	s_wait_storecnt 0x0
	s_wait_loadcnt_dscnt 0x0
	flat_store_b64 v[26:27], v[100:101] scope:SCOPE_SYS
.LBB10_396:                             ;   in Loop: Header=BB10_397 Depth=2
	s_wait_xcnt 0x0
	s_or_b32 exec_lo, exec_lo, s13
	v_add_nc_u32_e32 v112, v114, v112
	s_mov_b32 s16, 0
	s_and_not1_b32 exec_lo, exec_lo, s15
	s_cbranch_execz .LBB10_536
.LBB10_397:                             ;   Parent Loop BB10_73 Depth=1
                                        ; =>  This Loop Header: Depth=2
                                        ;       Child Loop BB10_403 Depth 3
                                        ;       Child Loop BB10_427 Depth 3
	;; [unrolled: 1-line block ×3, first 2 shown]
	s_delay_alu instid0(VALU_DEP_1) | instskip(SKIP_1) | instid1(VALU_DEP_1)
	v_dual_sub_nc_u32 v2, v72, v112 :: v_dual_bitop2_b32 v3, 8, v30 bitop3:0x40
	s_mov_b32 s17, exec_lo
	v_min_i32_e32 v114, v114, v2
	s_delay_alu instid0(VALU_DEP_2)
	v_cmpx_ne_u32_e32 0, v3
	s_cbranch_execz .LBB10_419
; %bb.398:                              ;   in Loop: Header=BB10_397 Depth=2
	s_wait_loadcnt_dscnt 0x1
	v_add_nc_u64_e32 v[4:5], 8, v[36:37]
	v_add_nc_u64_e32 v[2:3], 2, v[100:101]
	s_mov_b32 s29, exec_lo
	s_delay_alu instid0(VALU_DEP_1)
	v_cmpx_lt_u64_e64 v[4:5], v[2:3]
	s_cbranch_execz .LBB10_410
; %bb.399:                              ;   in Loop: Header=BB10_397 Depth=2
	v_and_b32_e32 v4, 64, v30
	s_mov_b32 s40, 0
	s_mov_b32 s44, 0
                                        ; implicit-def: $sgpr41
                                        ; implicit-def: $sgpr42
                                        ; implicit-def: $sgpr43
	s_delay_alu instid0(VALU_DEP_1)
	v_cmp_eq_u32_e32 vcc_lo, 0, v4
	s_branch .LBB10_403
.LBB10_400:                             ;   in Loop: Header=BB10_403 Depth=3
	s_wait_loadcnt_dscnt 0x0
	v_add_nc_u64_e32 v[116:117], 8, v[36:37]
	s_or_b32 s47, s47, exec_lo
	s_delay_alu instid0(VALU_DEP_1)
	v_cmp_ge_u64_e64 s13, v[116:117], v[2:3]
	s_or_not1_b32 s46, s13, exec_lo
.LBB10_401:                             ;   in Loop: Header=BB10_403 Depth=3
	s_or_b32 exec_lo, exec_lo, s57
	s_delay_alu instid0(SALU_CYCLE_1)
	s_and_not1_b32 s13, s43, exec_lo
	s_and_b32 s43, s47, exec_lo
	s_and_not1_b32 s42, s42, exec_lo
	s_and_b32 s46, s46, exec_lo
	s_or_b32 s43, s13, s43
	s_or_b32 s42, s42, s46
.LBB10_402:                             ;   in Loop: Header=BB10_403 Depth=3
	s_or_b32 exec_lo, exec_lo, s45
	s_delay_alu instid0(SALU_CYCLE_1) | instskip(NEXT) | instid1(SALU_CYCLE_1)
	s_and_b32 s13, exec_lo, s42
	s_or_b32 s40, s13, s40
	s_and_not1_b32 s13, s41, exec_lo
	s_and_b32 s41, s43, exec_lo
	s_delay_alu instid0(SALU_CYCLE_1)
	s_or_b32 s41, s13, s41
	s_and_not1_b32 exec_lo, exec_lo, s40
	s_cbranch_execz .LBB10_407
.LBB10_403:                             ;   Parent Loop BB10_73 Depth=1
                                        ;     Parent Loop BB10_397 Depth=2
                                        ; =>    This Inner Loop Header: Depth=3
	s_sleep 1
	s_wait_loadcnt_dscnt 0x0
	flat_load_b64 v[36:37], v[26:27] scope:SCOPE_SYS
	s_or_b32 s43, s43, exec_lo
	s_or_b32 s42, s42, exec_lo
                                        ; implicit-def: $vgpr4
	s_wait_xcnt 0x0
	s_and_saveexec_b32 s45, vcc_lo
	s_cbranch_execz .LBB10_402
; %bb.404:                              ;   in Loop: Header=BB10_403 Depth=3
	s_cmp_lt_i32 s44, 0x270f
	s_mov_b32 s46, -1
	s_cselect_b32 s56, -1, 0
	s_cmp_gt_i32 s44, 0x270e
	s_cbranch_scc0 .LBB10_406
; %bb.405:                              ;   in Loop: Header=BB10_403 Depth=3
	s_trap 2
	ds_load_b64 v[4:5], v0
	s_and_not1_b32 s44, s56, exec_lo
	s_mov_b32 s47, 0
	s_wait_storecnt 0x0
	s_wait_loadcnt_dscnt 0x0
	flat_load_b32 v4, v[4:5] scope:SCOPE_SYS
	s_wait_loadcnt_dscnt 0x0
	global_inv scope:SCOPE_SYS
	v_cmp_eq_u32_e64 s13, 0, v4
	s_and_b32 s13, s13, exec_lo
	s_delay_alu instid0(SALU_CYCLE_1)
	s_or_b32 s56, s44, s13
	s_mov_b32 s44, 0
	s_and_saveexec_b32 s57, s56
	s_cbranch_execz .LBB10_401
	s_branch .LBB10_400
.LBB10_406:                             ;   in Loop: Header=BB10_403 Depth=3
	s_add_co_i32 s44, s44, 1
	s_mov_b32 s47, -1
                                        ; implicit-def: $vgpr4
	s_and_saveexec_b32 s57, s56
	s_cbranch_execz .LBB10_401
	s_branch .LBB10_400
.LBB10_407:                             ;   in Loop: Header=BB10_397 Depth=2
	s_or_b32 exec_lo, exec_lo, s40
	s_xor_b32 s13, s41, -1
	s_delay_alu instid0(SALU_CYCLE_1) | instskip(NEXT) | instid1(SALU_CYCLE_1)
	s_and_saveexec_b32 s40, s13
	s_xor_b32 s13, exec_lo, s40
	s_cbranch_execz .LBB10_409
; %bb.408:                              ;   in Loop: Header=BB10_397 Depth=2
	v_or_b32_e32 v30, 64, v30
	s_wait_storecnt 0x0
	s_wait_loadcnt_dscnt 0x0
	ds_store_b32 v0, v4
	s_trap 2
.LBB10_409:                             ;   in Loop: Header=BB10_397 Depth=2
	s_or_b32 exec_lo, exec_lo, s13
.LBB10_410:                             ;   in Loop: Header=BB10_397 Depth=2
	s_delay_alu instid0(SALU_CYCLE_1) | instskip(SKIP_4) | instid1(VALU_DEP_2)
	s_or_b32 exec_lo, exec_lo, s29
	v_and_b32_e32 v4, 0x100, v30
	v_and_b32_e32 v48, 7, v100
	s_mov_b32 s13, -1
	;;#ASMSTART
	s_wakeup
	;;#ASMEND
	v_cmp_ne_u32_e32 vcc_lo, 0, v4
                                        ; implicit-def: $vgpr4_vgpr5
	s_and_saveexec_b32 s29, vcc_lo
	s_cbranch_execz .LBB10_414
; %bb.411:                              ;   in Loop: Header=BB10_397 Depth=2
	v_mad_nc_u64_u32 v[100:101], v48, 24, v[12:13]
	v_ashrrev_i32_e32 v115, 31, v114
	s_clause 0x1
	flat_load_b32 v4, v[100:101]
	flat_store_b64 v[100:101], v[114:115] offset:8
	s_wait_loadcnt_dscnt 0x1
	v_cmp_eq_u32_e64 s13, 1, v4
	v_cmp_ne_u32_e32 vcc_lo, 1, v4
                                        ; implicit-def: $vgpr4_vgpr5
	s_wait_xcnt 0x0
	s_and_saveexec_b32 s40, s13
	s_cbranch_execz .LBB10_413
; %bb.412:                              ;   in Loop: Header=BB10_397 Depth=2
	flat_load_b32 v4, v[100:101] offset:4 scope:SCOPE_SYS
	s_wait_loadcnt_dscnt 0x0
	v_ashrrev_i32_e32 v5, 31, v4
.LBB10_413:                             ;   in Loop: Header=BB10_397 Depth=2
	s_wait_xcnt 0x0
	s_or_b32 exec_lo, exec_lo, s40
	s_delay_alu instid0(SALU_CYCLE_1)
	s_or_not1_b32 s13, vcc_lo, exec_lo
.LBB10_414:                             ;   in Loop: Header=BB10_397 Depth=2
	s_or_b32 exec_lo, exec_lo, s29
	s_and_saveexec_b32 s29, s13
; %bb.415:                              ;   in Loop: Header=BB10_397 Depth=2
	v_mul_u64_e32 v[4:5], v[48:49], v[28:29]
; %bb.416:                              ;   in Loop: Header=BB10_397 Depth=2
	s_or_b32 exec_lo, exec_lo, s29
	s_delay_alu instid0(VALU_DEP_1)
	v_add_nc_u64_e32 v[4:5], v[32:33], v[4:5]
	v_and_b32_e32 v48, 0x2000, v30
	s_mov_b32 s13, exec_lo
	ds_store_b64 v0, v[4:5] offset:792
	v_cmpx_ne_u32_e32 0, v48
	s_cbranch_execz .LBB10_418
; %bb.417:                              ;   in Loop: Header=BB10_397 Depth=2
	ds_load_b64 v[4:5], v0 offset:872
	s_wait_dscnt 0x0
	v_add_nc_u64_e32 v[4:5], 1, v[4:5]
	ds_store_b64 v0, v[4:5] offset:872
.LBB10_418:                             ;   in Loop: Header=BB10_397 Depth=2
	s_or_b32 exec_lo, exec_lo, s13
	v_mov_b64_e32 v[100:101], v[2:3]
.LBB10_419:                             ;   in Loop: Header=BB10_397 Depth=2
	s_or_b32 exec_lo, exec_lo, s17
	s_xor_b32 s13, s16, -1
	s_delay_alu instid0(SALU_CYCLE_1) | instskip(NEXT) | instid1(SALU_CYCLE_1)
	s_and_b32 s13, exec_lo, s13
	s_or_b32 s15, s13, s15
	s_and_saveexec_b32 s13, s1
	s_cbranch_execz .LBB10_438
; %bb.420:                              ;   in Loop: Header=BB10_397 Depth=2
	s_and_saveexec_b32 s16, s2
	s_delay_alu instid0(SALU_CYCLE_1)
	s_xor_b32 s16, exec_lo, s16
	s_cbranch_execz .LBB10_435
; %bb.421:                              ;   in Loop: Header=BB10_397 Depth=2
	s_and_saveexec_b32 s17, s5
	s_cbranch_execz .LBB10_434
; %bb.422:                              ;   in Loop: Header=BB10_397 Depth=2
	s_mov_b32 s40, exec_lo
	s_mov_b32 s29, exec_lo
	v_mbcnt_lo_u32_b32 v2, s40, 0
	global_wb scope:SCOPE_DEV
	s_wait_storecnt 0x0
	s_wait_loadcnt_dscnt 0x0
	global_inv scope:SCOPE_DEV
	v_cmpx_eq_u32_e32 0, v2
	s_cbranch_execz .LBB10_424
; %bb.423:                              ;   in Loop: Header=BB10_397 Depth=2
	s_bcnt1_i32_b32 s40, s40
	s_delay_alu instid0(SALU_CYCLE_1)
	v_mov_b32_e32 v48, s40
	s_wait_loadcnt 0x0
	ds_add_u64 v0, v[48:49]
	s_trap 2
.LBB10_424:                             ;   in Loop: Header=BB10_397 Depth=2
	s_or_b32 exec_lo, exec_lo, s29
	s_trap 2
	ds_load_b64 v[2:3], v0
	s_wait_dscnt 0x0
	v_add_nc_u64_e32 v[14:15], v[14:15], v[50:51]
	s_mov_b32 s29, exec_lo
	s_delay_alu instid0(VALU_DEP_1)
	v_cmpx_lt_u64_e64 v[2:3], v[14:15]
	s_cbranch_execz .LBB10_433
; %bb.425:                              ;   in Loop: Header=BB10_397 Depth=2
	s_mov_b32 s40, 0
	s_mov_b32 s43, 0
                                        ; implicit-def: $sgpr41
                                        ; implicit-def: $sgpr42
	s_branch .LBB10_427
.LBB10_426:                             ;   in Loop: Header=BB10_427 Depth=3
	s_or_b32 exec_lo, exec_lo, s45
	s_delay_alu instid0(SALU_CYCLE_1) | instskip(NEXT) | instid1(SALU_CYCLE_1)
	s_and_b32 s44, exec_lo, s46
	s_or_b32 s40, s44, s40
	s_and_not1_b32 s41, s41, exec_lo
	s_and_b32 s44, s42, exec_lo
	s_delay_alu instid0(SALU_CYCLE_1)
	s_or_b32 s41, s41, s44
	s_and_not1_b32 exec_lo, exec_lo, s40
	s_cbranch_execz .LBB10_431
.LBB10_427:                             ;   Parent Loop BB10_73 Depth=1
                                        ;     Parent Loop BB10_397 Depth=2
                                        ; =>    This Inner Loop Header: Depth=3
	s_add_co_i32 s43, s43, 1
	s_delay_alu instid0(SALU_CYCLE_1) | instskip(SKIP_1) | instid1(SALU_CYCLE_1)
	s_cmp_lg_u32 s43, 0x2710
	s_cselect_b32 s44, -1, 0
	s_and_b32 vcc_lo, exec_lo, s44
	s_cbranch_vccz .LBB10_429
; %bb.428:                              ;   in Loop: Header=BB10_427 Depth=3
	s_mov_b32 s46, -1
	s_or_b32 s42, s42, exec_lo
	s_and_saveexec_b32 s45, s44
	s_cbranch_execz .LBB10_426
	s_branch .LBB10_430
.LBB10_429:                             ;   in Loop: Header=BB10_427 Depth=3
	s_trap 2
	ds_load_b64 v[2:3], v0
	s_and_not1_b32 s44, s44, exec_lo
	s_mov_b32 s43, 0
	s_wait_loadcnt_dscnt 0x0
	flat_load_b32 v2, v[2:3] scope:SCOPE_SYS
	s_wait_loadcnt_dscnt 0x0
	global_inv scope:SCOPE_SYS
	v_cmp_eq_u32_e32 vcc_lo, 0, v2
	s_and_b32 s45, vcc_lo, exec_lo
	s_delay_alu instid0(SALU_CYCLE_1)
	s_or_b32 s44, s44, s45
	s_mov_b32 s46, -1
	s_or_b32 s42, s42, exec_lo
	s_and_saveexec_b32 s45, s44
	s_cbranch_execz .LBB10_426
.LBB10_430:                             ;   in Loop: Header=BB10_427 Depth=3
	s_sleep 1
	s_trap 2
	ds_load_b64 v[2:3], v0
	s_wait_dscnt 0x0
	s_and_not1_b32 s42, s42, exec_lo
	v_cmp_ge_u64_e32 vcc_lo, v[2:3], v[14:15]
	s_or_not1_b32 s46, vcc_lo, exec_lo
	s_branch .LBB10_426
.LBB10_431:                             ;   in Loop: Header=BB10_397 Depth=2
	s_or_b32 exec_lo, exec_lo, s40
	s_and_saveexec_b32 s40, s41
	s_delay_alu instid0(SALU_CYCLE_1)
	s_xor_b32 s40, exec_lo, s40
	s_cbranch_execz .LBB10_433
; %bb.432:                              ;   in Loop: Header=BB10_397 Depth=2
	ds_store_b32 v0, v60
	s_trap 2
.LBB10_433:                             ;   in Loop: Header=BB10_397 Depth=2
	s_or_b32 exec_lo, exec_lo, s29
	;;#ASMSTART
	s_wakeup
	;;#ASMEND
.LBB10_434:                             ;   in Loop: Header=BB10_397 Depth=2
	s_or_b32 exec_lo, exec_lo, s17
.LBB10_435:                             ;   in Loop: Header=BB10_397 Depth=2
	s_and_not1_saveexec_b32 s16, s16
	s_cbranch_execz .LBB10_437
; %bb.436:                              ;   in Loop: Header=BB10_397 Depth=2
	global_wb scope:SCOPE_DEV
	s_wait_storecnt 0x0
	s_wait_loadcnt_dscnt 0x0
	global_inv scope:SCOPE_DEV
	s_barrier_signal -1
	s_barrier_wait -1
.LBB10_437:                             ;   in Loop: Header=BB10_397 Depth=2
	s_or_b32 exec_lo, exec_lo, s16
.LBB10_438:                             ;   in Loop: Header=BB10_397 Depth=2
	s_delay_alu instid0(SALU_CYCLE_1) | instskip(SKIP_1) | instid1(SALU_CYCLE_1)
	s_or_b32 exec_lo, exec_lo, s13
                                        ; implicit-def: $vgpr2
	s_and_saveexec_b32 s13, s10
	s_xor_b32 s16, exec_lo, s13
	s_cbranch_execz .LBB10_442
; %bb.439:                              ;   in Loop: Header=BB10_397 Depth=2
	s_trap 2
	ds_load_b32 v2, v0
	v_cmp_lt_i32_e32 vcc_lo, 0, v114
	s_wait_dscnt 0x0
	v_readfirstlane_b32 s13, v2
	v_and_b32_e32 v2, 16, v30
	s_cmp_eq_u32 s13, 0
	s_delay_alu instid0(VALU_DEP_1) | instskip(SKIP_3) | instid1(SALU_CYCLE_1)
	v_cmp_ne_u32_e64 s13, 0, v2
	s_cselect_b32 s17, -1, 0
	v_and_b32_e32 v2, 16, v30
	s_and_b32 s17, vcc_lo, s17
	s_and_b32 s17, s13, s17
	s_delay_alu instid0(SALU_CYCLE_1)
	s_and_saveexec_b32 s13, s17
	s_cbranch_execz .LBB10_441
; %bb.440:                              ;   in Loop: Header=BB10_397 Depth=2
	v_mov_b32_e32 v2, 1
	global_wb scope:SCOPE_SYS
	s_wait_loadcnt 0x0
	s_wait_storecnt 0x0
	global_inv scope:SCOPE_SYS
.LBB10_441:                             ;   in Loop: Header=BB10_397 Depth=2
	s_or_b32 exec_lo, exec_lo, s13
	s_and_not1_saveexec_b32 s13, s16
	s_cbranch_execz .LBB10_461
	s_branch .LBB10_443
.LBB10_442:                             ;   in Loop: Header=BB10_397 Depth=2
	s_and_not1_saveexec_b32 s13, s16
	s_cbranch_execz .LBB10_461
.LBB10_443:                             ;   in Loop: Header=BB10_397 Depth=2
	s_and_saveexec_b32 s16, s2
	s_delay_alu instid0(SALU_CYCLE_1)
	s_xor_b32 s16, exec_lo, s16
	s_cbranch_execz .LBB10_458
; %bb.444:                              ;   in Loop: Header=BB10_397 Depth=2
	s_and_saveexec_b32 s17, s5
	s_cbranch_execz .LBB10_457
; %bb.445:                              ;   in Loop: Header=BB10_397 Depth=2
	s_mov_b32 s40, exec_lo
	s_mov_b32 s29, exec_lo
	v_mbcnt_lo_u32_b32 v2, s40, 0
	;;#ASMSTART
	s_waitcnt lgkmcnt(0) vmcnt(0)
	;;#ASMEND
	s_delay_alu instid0(VALU_DEP_1)
	v_cmpx_eq_u32_e32 0, v2
	s_cbranch_execz .LBB10_447
; %bb.446:                              ;   in Loop: Header=BB10_397 Depth=2
	s_bcnt1_i32_b32 s40, s40
	s_delay_alu instid0(SALU_CYCLE_1)
	v_mov_b32_e32 v48, s40
	s_wait_storecnt 0x0
	s_wait_loadcnt_dscnt 0x0
	ds_add_u64 v0, v[48:49]
	s_trap 2
.LBB10_447:                             ;   in Loop: Header=BB10_397 Depth=2
	s_or_b32 exec_lo, exec_lo, s29
	s_trap 2
	ds_load_b64 v[2:3], v0
	s_wait_dscnt 0x0
	v_add_nc_u64_e32 v[14:15], v[14:15], v[50:51]
	s_mov_b32 s29, exec_lo
	s_delay_alu instid0(VALU_DEP_1)
	v_cmpx_lt_u64_e64 v[2:3], v[14:15]
	s_cbranch_execz .LBB10_456
; %bb.448:                              ;   in Loop: Header=BB10_397 Depth=2
	s_mov_b32 s40, 0
	s_mov_b32 s43, 0
                                        ; implicit-def: $sgpr41
                                        ; implicit-def: $sgpr42
	s_branch .LBB10_450
.LBB10_449:                             ;   in Loop: Header=BB10_450 Depth=3
	s_or_b32 exec_lo, exec_lo, s45
	s_delay_alu instid0(SALU_CYCLE_1) | instskip(NEXT) | instid1(SALU_CYCLE_1)
	s_and_b32 s44, exec_lo, s46
	s_or_b32 s40, s44, s40
	s_and_not1_b32 s41, s41, exec_lo
	s_and_b32 s44, s42, exec_lo
	s_delay_alu instid0(SALU_CYCLE_1)
	s_or_b32 s41, s41, s44
	s_and_not1_b32 exec_lo, exec_lo, s40
	s_cbranch_execz .LBB10_454
.LBB10_450:                             ;   Parent Loop BB10_73 Depth=1
                                        ;     Parent Loop BB10_397 Depth=2
                                        ; =>    This Inner Loop Header: Depth=3
	s_add_co_i32 s43, s43, 1
	s_delay_alu instid0(SALU_CYCLE_1) | instskip(SKIP_1) | instid1(SALU_CYCLE_1)
	s_cmp_lg_u32 s43, 0x2710
	s_cselect_b32 s44, -1, 0
	s_and_b32 vcc_lo, exec_lo, s44
	s_cbranch_vccz .LBB10_452
; %bb.451:                              ;   in Loop: Header=BB10_450 Depth=3
	s_mov_b32 s46, -1
	s_or_b32 s42, s42, exec_lo
	s_and_saveexec_b32 s45, s44
	s_cbranch_execz .LBB10_449
	s_branch .LBB10_453
.LBB10_452:                             ;   in Loop: Header=BB10_450 Depth=3
	s_trap 2
	ds_load_b64 v[2:3], v0
	s_and_not1_b32 s44, s44, exec_lo
	s_mov_b32 s43, 0
	s_wait_storecnt 0x0
	s_wait_loadcnt_dscnt 0x0
	flat_load_b32 v2, v[2:3] scope:SCOPE_SYS
	s_wait_loadcnt_dscnt 0x0
	global_inv scope:SCOPE_SYS
	v_cmp_eq_u32_e32 vcc_lo, 0, v2
	s_and_b32 s45, vcc_lo, exec_lo
	s_delay_alu instid0(SALU_CYCLE_1)
	s_or_b32 s44, s44, s45
	s_mov_b32 s46, -1
	s_or_b32 s42, s42, exec_lo
	s_and_saveexec_b32 s45, s44
	s_cbranch_execz .LBB10_449
.LBB10_453:                             ;   in Loop: Header=BB10_450 Depth=3
	s_sleep 1
	s_trap 2
	ds_load_b64 v[2:3], v0
	s_wait_dscnt 0x0
	s_and_not1_b32 s42, s42, exec_lo
	v_cmp_ge_u64_e32 vcc_lo, v[2:3], v[14:15]
	s_or_not1_b32 s46, vcc_lo, exec_lo
	s_branch .LBB10_449
.LBB10_454:                             ;   in Loop: Header=BB10_397 Depth=2
	s_or_b32 exec_lo, exec_lo, s40
	s_and_saveexec_b32 s40, s41
	s_delay_alu instid0(SALU_CYCLE_1)
	s_xor_b32 s40, exec_lo, s40
	s_cbranch_execz .LBB10_456
; %bb.455:                              ;   in Loop: Header=BB10_397 Depth=2
	ds_store_b32 v0, v60
	s_trap 2
.LBB10_456:                             ;   in Loop: Header=BB10_397 Depth=2
	s_or_b32 exec_lo, exec_lo, s29
	;;#ASMSTART
	s_wakeup
	;;#ASMEND
.LBB10_457:                             ;   in Loop: Header=BB10_397 Depth=2
	s_or_b32 exec_lo, exec_lo, s17
.LBB10_458:                             ;   in Loop: Header=BB10_397 Depth=2
	s_and_not1_saveexec_b32 s16, s16
	s_cbranch_execz .LBB10_460
; %bb.459:                              ;   in Loop: Header=BB10_397 Depth=2
	;;#ASMSTART
	s_waitcnt lgkmcnt(0) vmcnt(0)
	;;#ASMEND
	s_barrier_signal -1
	s_barrier_wait -1
.LBB10_460:                             ;   in Loop: Header=BB10_397 Depth=2
	s_or_b32 exec_lo, exec_lo, s16
	v_and_b32_e32 v2, 16, v30
.LBB10_461:                             ;   in Loop: Header=BB10_397 Depth=2
	s_or_b32 exec_lo, exec_lo, s13
	s_delay_alu instid0(SALU_CYCLE_1) | instskip(NEXT) | instid1(VALU_DEP_1)
	s_mov_b32 s13, exec_lo
	v_cmpx_ne_u32_e32 0, v2
	s_cbranch_execz .LBB10_396
; %bb.462:                              ;   in Loop: Header=BB10_397 Depth=2
	s_and_saveexec_b32 s16, s4
	s_cbranch_execz .LBB10_395
; %bb.463:                              ;   in Loop: Header=BB10_397 Depth=2
	global_wb scope:SCOPE_SYS
	s_wait_storecnt 0x0
	s_wait_loadcnt_dscnt 0x0
	flat_store_b32 v[34:35], v60 scope:SCOPE_SYS
	s_branch .LBB10_395
.LBB10_464:                             ;   in Loop: Header=BB10_73 Depth=1
	s_or_b32 exec_lo, exec_lo, s16
.LBB10_465:                             ;   in Loop: Header=BB10_73 Depth=1
	s_delay_alu instid0(SALU_CYCLE_1) | instskip(NEXT) | instid1(SALU_CYCLE_1)
	s_or_b32 exec_lo, exec_lo, s15
	s_mov_b32 s15, exec_lo
	v_cmpx_gt_i32_e32 2, v3
	s_cbranch_execz .LBB10_540
; %bb.466:                              ;   in Loop: Header=BB10_73 Depth=1
	v_cmp_eq_u32_e64 s17, 0, v3
	s_mov_b32 s16, 0
	s_branch .LBB10_469
.LBB10_467:                             ;   in Loop: Header=BB10_469 Depth=2
	s_wait_xcnt 0x0
	s_or_b32 exec_lo, exec_lo, s17
	v_add_nc_u64_e32 v[100:101], 2, v[100:101]
	global_wb scope:SCOPE_SYS
	s_wait_storecnt 0x0
	s_wait_loadcnt_dscnt 0x0
	flat_store_b64 v[26:27], v[100:101] scope:SCOPE_SYS
.LBB10_468:                             ;   in Loop: Header=BB10_469 Depth=2
	s_wait_xcnt 0x0
	s_or_b32 exec_lo, exec_lo, s13
	v_add_nc_u32_e32 v2, v4, v2
	s_mov_b32 s17, 0
	s_and_not1_b32 exec_lo, exec_lo, s16
	s_cbranch_execz .LBB10_539
.LBB10_469:                             ;   Parent Loop BB10_73 Depth=1
                                        ; =>  This Loop Header: Depth=2
                                        ;       Child Loop BB10_475 Depth 3
                                        ;       Child Loop BB10_499 Depth 3
	;; [unrolled: 1-line block ×3, first 2 shown]
	s_delay_alu instid0(VALU_DEP_1) | instskip(SKIP_2) | instid1(VALU_DEP_2)
	v_sub_nc_u32_e32 v3, v72, v2
	v_and_b32_e32 v5, 8, v30
	s_mov_b32 s28, exec_lo
	v_min_i32_e32 v4, v4, v3
	s_delay_alu instid0(VALU_DEP_2)
	v_cmpx_ne_u32_e32 0, v5
	s_cbranch_execz .LBB10_491
; %bb.470:                              ;   in Loop: Header=BB10_469 Depth=2
	s_wait_loadcnt_dscnt 0x1
	v_add_nc_u64_e32 v[114:115], 8, v[36:37]
	v_add_nc_u64_e32 v[112:113], 2, v[100:101]
	s_mov_b32 s29, exec_lo
	s_delay_alu instid0(VALU_DEP_1)
	v_cmpx_lt_u64_e64 v[114:115], v[112:113]
	s_cbranch_execz .LBB10_482
; %bb.471:                              ;   in Loop: Header=BB10_469 Depth=2
	v_and_b32_e32 v3, 64, v30
	s_mov_b32 s40, 0
	s_mov_b32 s44, 0
                                        ; implicit-def: $sgpr41
                                        ; implicit-def: $sgpr42
                                        ; implicit-def: $sgpr43
	s_delay_alu instid0(VALU_DEP_1)
	v_cmp_eq_u32_e32 vcc_lo, 0, v3
	s_branch .LBB10_475
.LBB10_472:                             ;   in Loop: Header=BB10_475 Depth=3
	s_wait_loadcnt_dscnt 0x0
	v_add_nc_u64_e32 v[114:115], 8, v[36:37]
	s_or_b32 s47, s47, exec_lo
	s_delay_alu instid0(VALU_DEP_1)
	v_cmp_ge_u64_e64 s13, v[114:115], v[112:113]
	s_or_not1_b32 s46, s13, exec_lo
.LBB10_473:                             ;   in Loop: Header=BB10_475 Depth=3
	s_or_b32 exec_lo, exec_lo, s57
	s_delay_alu instid0(SALU_CYCLE_1)
	s_and_not1_b32 s13, s43, exec_lo
	s_and_b32 s43, s47, exec_lo
	s_and_not1_b32 s42, s42, exec_lo
	s_and_b32 s46, s46, exec_lo
	s_or_b32 s43, s13, s43
	s_or_b32 s42, s42, s46
.LBB10_474:                             ;   in Loop: Header=BB10_475 Depth=3
	s_or_b32 exec_lo, exec_lo, s45
	s_delay_alu instid0(SALU_CYCLE_1) | instskip(NEXT) | instid1(SALU_CYCLE_1)
	s_and_b32 s13, exec_lo, s42
	s_or_b32 s40, s13, s40
	s_and_not1_b32 s13, s41, exec_lo
	s_and_b32 s41, s43, exec_lo
	s_delay_alu instid0(SALU_CYCLE_1)
	s_or_b32 s41, s13, s41
	s_and_not1_b32 exec_lo, exec_lo, s40
	s_cbranch_execz .LBB10_479
.LBB10_475:                             ;   Parent Loop BB10_73 Depth=1
                                        ;     Parent Loop BB10_469 Depth=2
                                        ; =>    This Inner Loop Header: Depth=3
	s_sleep 1
	s_wait_loadcnt_dscnt 0x0
	flat_load_b64 v[36:37], v[26:27] scope:SCOPE_SYS
	s_or_b32 s43, s43, exec_lo
	s_or_b32 s42, s42, exec_lo
                                        ; implicit-def: $vgpr3
	s_wait_xcnt 0x0
	s_and_saveexec_b32 s45, vcc_lo
	s_cbranch_execz .LBB10_474
; %bb.476:                              ;   in Loop: Header=BB10_475 Depth=3
	s_cmp_lt_i32 s44, 0x270f
	s_mov_b32 s46, -1
	s_cselect_b32 s56, -1, 0
	s_cmp_gt_i32 s44, 0x270e
	s_cbranch_scc0 .LBB10_478
; %bb.477:                              ;   in Loop: Header=BB10_475 Depth=3
	s_trap 2
	ds_load_b64 v[114:115], v0
	s_and_not1_b32 s44, s56, exec_lo
	s_mov_b32 s47, 0
	s_wait_storecnt 0x0
	s_wait_loadcnt_dscnt 0x0
	flat_load_b32 v3, v[114:115] scope:SCOPE_SYS
	s_wait_loadcnt_dscnt 0x0
	global_inv scope:SCOPE_SYS
	v_cmp_eq_u32_e64 s13, 0, v3
	s_and_b32 s13, s13, exec_lo
	s_delay_alu instid0(SALU_CYCLE_1)
	s_or_b32 s56, s44, s13
	s_mov_b32 s44, 0
	s_and_saveexec_b32 s57, s56
	s_cbranch_execz .LBB10_473
	s_branch .LBB10_472
.LBB10_478:                             ;   in Loop: Header=BB10_475 Depth=3
	s_add_co_i32 s44, s44, 1
	s_mov_b32 s47, -1
                                        ; implicit-def: $vgpr3
	s_and_saveexec_b32 s57, s56
	s_cbranch_execz .LBB10_473
	s_branch .LBB10_472
.LBB10_479:                             ;   in Loop: Header=BB10_469 Depth=2
	s_or_b32 exec_lo, exec_lo, s40
	s_xor_b32 s13, s41, -1
	s_delay_alu instid0(SALU_CYCLE_1) | instskip(NEXT) | instid1(SALU_CYCLE_1)
	s_and_saveexec_b32 s40, s13
	s_xor_b32 s13, exec_lo, s40
	s_cbranch_execz .LBB10_481
; %bb.480:                              ;   in Loop: Header=BB10_469 Depth=2
	v_or_b32_e32 v30, 64, v30
	s_wait_storecnt 0x0
	s_wait_loadcnt_dscnt 0x0
	ds_store_b32 v0, v3
	s_trap 2
.LBB10_481:                             ;   in Loop: Header=BB10_469 Depth=2
	s_or_b32 exec_lo, exec_lo, s13
.LBB10_482:                             ;   in Loop: Header=BB10_469 Depth=2
	s_delay_alu instid0(SALU_CYCLE_1)
	s_or_b32 exec_lo, exec_lo, s29
	v_and_b32_e32 v3, 0x100, v30
	v_and_b32_e32 v48, 7, v100
	s_mov_b32 s13, -1
	s_mov_b32 s29, exec_lo
	;;#ASMSTART
	s_wakeup
	;;#ASMEND
                                        ; implicit-def: $vgpr100_vgpr101
	v_cmpx_ne_u32_e32 0, v3
	s_cbranch_execz .LBB10_486
; %bb.483:                              ;   in Loop: Header=BB10_469 Depth=2
	v_mad_nc_u64_u32 v[114:115], v48, 24, v[12:13]
	v_ashrrev_i32_e32 v5, 31, v4
	s_mov_b32 s40, exec_lo
                                        ; implicit-def: $vgpr100_vgpr101
	s_clause 0x1
	flat_load_b32 v3, v[114:115]
	flat_store_b64 v[114:115], v[4:5] offset:8
	s_wait_loadcnt_dscnt 0x1
	v_cmp_ne_u32_e32 vcc_lo, 1, v3
	s_wait_xcnt 0x0
	v_cmpx_eq_u32_e32 1, v3
	s_cbranch_execz .LBB10_485
; %bb.484:                              ;   in Loop: Header=BB10_469 Depth=2
	flat_load_b32 v100, v[114:115] offset:4 scope:SCOPE_SYS
	s_wait_loadcnt_dscnt 0x0
	v_ashrrev_i32_e32 v101, 31, v100
.LBB10_485:                             ;   in Loop: Header=BB10_469 Depth=2
	s_wait_xcnt 0x0
	s_or_b32 exec_lo, exec_lo, s40
	s_delay_alu instid0(SALU_CYCLE_1)
	s_or_not1_b32 s13, vcc_lo, exec_lo
.LBB10_486:                             ;   in Loop: Header=BB10_469 Depth=2
	s_or_b32 exec_lo, exec_lo, s29
	s_and_saveexec_b32 s29, s13
; %bb.487:                              ;   in Loop: Header=BB10_469 Depth=2
	v_mul_u64_e32 v[100:101], v[48:49], v[28:29]
; %bb.488:                              ;   in Loop: Header=BB10_469 Depth=2
	s_or_b32 exec_lo, exec_lo, s29
	s_delay_alu instid0(VALU_DEP_1)
	v_add_nc_u64_e32 v[100:101], v[32:33], v[100:101]
	v_and_b32_e32 v3, 0x2000, v30
	s_mov_b32 s13, exec_lo
	ds_store_b64 v0, v[100:101] offset:784
	v_cmpx_ne_u32_e32 0, v3
	s_cbranch_execz .LBB10_490
; %bb.489:                              ;   in Loop: Header=BB10_469 Depth=2
	ds_load_b64 v[100:101], v0 offset:872
	s_wait_dscnt 0x0
	v_add_nc_u64_e32 v[100:101], 1, v[100:101]
	ds_store_b64 v0, v[100:101] offset:872
.LBB10_490:                             ;   in Loop: Header=BB10_469 Depth=2
	s_or_b32 exec_lo, exec_lo, s13
	v_mov_b64_e32 v[100:101], v[112:113]
.LBB10_491:                             ;   in Loop: Header=BB10_469 Depth=2
	s_or_b32 exec_lo, exec_lo, s28
	s_xor_b32 s13, s17, -1
	s_delay_alu instid0(SALU_CYCLE_1) | instskip(NEXT) | instid1(SALU_CYCLE_1)
	s_and_b32 s13, exec_lo, s13
	s_or_b32 s16, s13, s16
	s_and_saveexec_b32 s13, s1
	s_cbranch_execz .LBB10_510
; %bb.492:                              ;   in Loop: Header=BB10_469 Depth=2
	s_and_saveexec_b32 s17, s2
	s_delay_alu instid0(SALU_CYCLE_1)
	s_xor_b32 s17, exec_lo, s17
	s_cbranch_execz .LBB10_507
; %bb.493:                              ;   in Loop: Header=BB10_469 Depth=2
	s_and_saveexec_b32 s28, s5
	s_cbranch_execz .LBB10_506
; %bb.494:                              ;   in Loop: Header=BB10_469 Depth=2
	s_mov_b32 s40, exec_lo
	s_mov_b32 s29, exec_lo
	v_mbcnt_lo_u32_b32 v3, s40, 0
	global_wb scope:SCOPE_DEV
	s_wait_storecnt 0x0
	s_wait_loadcnt_dscnt 0x0
	global_inv scope:SCOPE_DEV
	v_cmpx_eq_u32_e32 0, v3
	s_cbranch_execz .LBB10_496
; %bb.495:                              ;   in Loop: Header=BB10_469 Depth=2
	s_bcnt1_i32_b32 s40, s40
	s_delay_alu instid0(SALU_CYCLE_1)
	v_mov_b32_e32 v48, s40
	s_wait_loadcnt 0x0
	ds_add_u64 v0, v[48:49]
	s_trap 2
.LBB10_496:                             ;   in Loop: Header=BB10_469 Depth=2
	s_or_b32 exec_lo, exec_lo, s29
	s_trap 2
	ds_load_b64 v[112:113], v0
	s_wait_dscnt 0x0
	v_add_nc_u64_e32 v[14:15], v[14:15], v[50:51]
	s_mov_b32 s29, exec_lo
	s_delay_alu instid0(VALU_DEP_1)
	v_cmpx_lt_u64_e64 v[112:113], v[14:15]
	s_cbranch_execz .LBB10_505
; %bb.497:                              ;   in Loop: Header=BB10_469 Depth=2
	s_mov_b32 s40, 0
	s_mov_b32 s43, 0
                                        ; implicit-def: $sgpr41
                                        ; implicit-def: $sgpr42
	s_branch .LBB10_499
.LBB10_498:                             ;   in Loop: Header=BB10_499 Depth=3
	s_or_b32 exec_lo, exec_lo, s45
	s_delay_alu instid0(SALU_CYCLE_1) | instskip(NEXT) | instid1(SALU_CYCLE_1)
	s_and_b32 s44, exec_lo, s46
	s_or_b32 s40, s44, s40
	s_and_not1_b32 s41, s41, exec_lo
	s_and_b32 s44, s42, exec_lo
	s_delay_alu instid0(SALU_CYCLE_1)
	s_or_b32 s41, s41, s44
	s_and_not1_b32 exec_lo, exec_lo, s40
	s_cbranch_execz .LBB10_503
.LBB10_499:                             ;   Parent Loop BB10_73 Depth=1
                                        ;     Parent Loop BB10_469 Depth=2
                                        ; =>    This Inner Loop Header: Depth=3
	s_add_co_i32 s43, s43, 1
	s_delay_alu instid0(SALU_CYCLE_1) | instskip(SKIP_1) | instid1(SALU_CYCLE_1)
	s_cmp_lg_u32 s43, 0x2710
	s_cselect_b32 s44, -1, 0
	s_and_b32 vcc_lo, exec_lo, s44
	s_cbranch_vccz .LBB10_501
; %bb.500:                              ;   in Loop: Header=BB10_499 Depth=3
	s_mov_b32 s46, -1
	s_or_b32 s42, s42, exec_lo
	s_and_saveexec_b32 s45, s44
	s_cbranch_execz .LBB10_498
	s_branch .LBB10_502
.LBB10_501:                             ;   in Loop: Header=BB10_499 Depth=3
	s_trap 2
	ds_load_b64 v[112:113], v0
	s_and_not1_b32 s44, s44, exec_lo
	s_mov_b32 s43, 0
	s_wait_loadcnt_dscnt 0x0
	flat_load_b32 v3, v[112:113] scope:SCOPE_SYS
	s_wait_loadcnt_dscnt 0x0
	global_inv scope:SCOPE_SYS
	v_cmp_eq_u32_e32 vcc_lo, 0, v3
	s_and_b32 s45, vcc_lo, exec_lo
	s_delay_alu instid0(SALU_CYCLE_1)
	s_or_b32 s44, s44, s45
	s_mov_b32 s46, -1
	s_or_b32 s42, s42, exec_lo
	s_and_saveexec_b32 s45, s44
	s_cbranch_execz .LBB10_498
.LBB10_502:                             ;   in Loop: Header=BB10_499 Depth=3
	s_sleep 1
	s_trap 2
	ds_load_b64 v[112:113], v0
	s_wait_dscnt 0x0
	s_and_not1_b32 s42, s42, exec_lo
	v_cmp_ge_u64_e32 vcc_lo, v[112:113], v[14:15]
	s_or_not1_b32 s46, vcc_lo, exec_lo
	s_branch .LBB10_498
.LBB10_503:                             ;   in Loop: Header=BB10_469 Depth=2
	s_or_b32 exec_lo, exec_lo, s40
	s_and_saveexec_b32 s40, s41
	s_delay_alu instid0(SALU_CYCLE_1)
	s_xor_b32 s40, exec_lo, s40
	s_cbranch_execz .LBB10_505
; %bb.504:                              ;   in Loop: Header=BB10_469 Depth=2
	ds_store_b32 v0, v60
	s_trap 2
.LBB10_505:                             ;   in Loop: Header=BB10_469 Depth=2
	s_or_b32 exec_lo, exec_lo, s29
	;;#ASMSTART
	s_wakeup
	;;#ASMEND
.LBB10_506:                             ;   in Loop: Header=BB10_469 Depth=2
	s_or_b32 exec_lo, exec_lo, s28
.LBB10_507:                             ;   in Loop: Header=BB10_469 Depth=2
	s_and_not1_saveexec_b32 s17, s17
	s_cbranch_execz .LBB10_509
; %bb.508:                              ;   in Loop: Header=BB10_469 Depth=2
	global_wb scope:SCOPE_DEV
	s_wait_storecnt 0x0
	s_wait_loadcnt_dscnt 0x0
	global_inv scope:SCOPE_DEV
	s_barrier_signal -1
	s_barrier_wait -1
.LBB10_509:                             ;   in Loop: Header=BB10_469 Depth=2
	s_or_b32 exec_lo, exec_lo, s17
.LBB10_510:                             ;   in Loop: Header=BB10_469 Depth=2
	s_delay_alu instid0(SALU_CYCLE_1) | instskip(SKIP_1) | instid1(SALU_CYCLE_1)
	s_or_b32 exec_lo, exec_lo, s13
                                        ; implicit-def: $vgpr3
	s_and_saveexec_b32 s13, s10
	s_xor_b32 s17, exec_lo, s13
	s_cbranch_execz .LBB10_514
; %bb.511:                              ;   in Loop: Header=BB10_469 Depth=2
	s_trap 2
	ds_load_b32 v3, v0
	v_cmp_lt_i32_e32 vcc_lo, 0, v4
	s_wait_dscnt 0x0
	v_readfirstlane_b32 s13, v3
	v_and_b32_e32 v3, 16, v30
	s_cmp_eq_u32 s13, 0
	s_delay_alu instid0(VALU_DEP_1) | instskip(SKIP_3) | instid1(SALU_CYCLE_1)
	v_cmp_ne_u32_e64 s13, 0, v3
	s_cselect_b32 s28, -1, 0
	v_and_b32_e32 v3, 16, v30
	s_and_b32 s28, vcc_lo, s28
	s_and_b32 s28, s13, s28
	s_delay_alu instid0(SALU_CYCLE_1)
	s_and_saveexec_b32 s13, s28
	s_cbranch_execz .LBB10_513
; %bb.512:                              ;   in Loop: Header=BB10_469 Depth=2
	v_mov_b32_e32 v3, 1
	global_wb scope:SCOPE_SYS
	s_wait_loadcnt 0x0
	s_wait_storecnt 0x0
	global_inv scope:SCOPE_SYS
.LBB10_513:                             ;   in Loop: Header=BB10_469 Depth=2
	s_or_b32 exec_lo, exec_lo, s13
	s_and_not1_saveexec_b32 s13, s17
	s_cbranch_execz .LBB10_533
	s_branch .LBB10_515
.LBB10_514:                             ;   in Loop: Header=BB10_469 Depth=2
	s_and_not1_saveexec_b32 s13, s17
	s_cbranch_execz .LBB10_533
.LBB10_515:                             ;   in Loop: Header=BB10_469 Depth=2
	s_and_saveexec_b32 s17, s2
	s_delay_alu instid0(SALU_CYCLE_1)
	s_xor_b32 s17, exec_lo, s17
	s_cbranch_execz .LBB10_530
; %bb.516:                              ;   in Loop: Header=BB10_469 Depth=2
	s_and_saveexec_b32 s28, s5
	s_cbranch_execz .LBB10_529
; %bb.517:                              ;   in Loop: Header=BB10_469 Depth=2
	s_mov_b32 s40, exec_lo
	s_mov_b32 s29, exec_lo
	v_mbcnt_lo_u32_b32 v3, s40, 0
	;;#ASMSTART
	s_waitcnt lgkmcnt(0) vmcnt(0)
	;;#ASMEND
	s_delay_alu instid0(VALU_DEP_1)
	v_cmpx_eq_u32_e32 0, v3
	s_cbranch_execz .LBB10_519
; %bb.518:                              ;   in Loop: Header=BB10_469 Depth=2
	s_bcnt1_i32_b32 s40, s40
	s_delay_alu instid0(SALU_CYCLE_1)
	v_mov_b32_e32 v48, s40
	s_wait_storecnt 0x0
	s_wait_loadcnt_dscnt 0x0
	ds_add_u64 v0, v[48:49]
	s_trap 2
.LBB10_519:                             ;   in Loop: Header=BB10_469 Depth=2
	s_or_b32 exec_lo, exec_lo, s29
	s_trap 2
	ds_load_b64 v[112:113], v0
	s_wait_dscnt 0x0
	v_add_nc_u64_e32 v[14:15], v[14:15], v[50:51]
	s_mov_b32 s29, exec_lo
	s_delay_alu instid0(VALU_DEP_1)
	v_cmpx_lt_u64_e64 v[112:113], v[14:15]
	s_cbranch_execz .LBB10_528
; %bb.520:                              ;   in Loop: Header=BB10_469 Depth=2
	s_mov_b32 s40, 0
	s_mov_b32 s43, 0
                                        ; implicit-def: $sgpr41
                                        ; implicit-def: $sgpr42
	s_branch .LBB10_522
.LBB10_521:                             ;   in Loop: Header=BB10_522 Depth=3
	s_or_b32 exec_lo, exec_lo, s45
	s_delay_alu instid0(SALU_CYCLE_1) | instskip(NEXT) | instid1(SALU_CYCLE_1)
	s_and_b32 s44, exec_lo, s46
	s_or_b32 s40, s44, s40
	s_and_not1_b32 s41, s41, exec_lo
	s_and_b32 s44, s42, exec_lo
	s_delay_alu instid0(SALU_CYCLE_1)
	s_or_b32 s41, s41, s44
	s_and_not1_b32 exec_lo, exec_lo, s40
	s_cbranch_execz .LBB10_526
.LBB10_522:                             ;   Parent Loop BB10_73 Depth=1
                                        ;     Parent Loop BB10_469 Depth=2
                                        ; =>    This Inner Loop Header: Depth=3
	s_add_co_i32 s43, s43, 1
	s_delay_alu instid0(SALU_CYCLE_1) | instskip(SKIP_1) | instid1(SALU_CYCLE_1)
	s_cmp_lg_u32 s43, 0x2710
	s_cselect_b32 s44, -1, 0
	s_and_b32 vcc_lo, exec_lo, s44
	s_cbranch_vccz .LBB10_524
; %bb.523:                              ;   in Loop: Header=BB10_522 Depth=3
	s_mov_b32 s46, -1
	s_or_b32 s42, s42, exec_lo
	s_and_saveexec_b32 s45, s44
	s_cbranch_execz .LBB10_521
	s_branch .LBB10_525
.LBB10_524:                             ;   in Loop: Header=BB10_522 Depth=3
	s_trap 2
	ds_load_b64 v[112:113], v0
	s_and_not1_b32 s44, s44, exec_lo
	s_mov_b32 s43, 0
	s_wait_storecnt 0x0
	s_wait_loadcnt_dscnt 0x0
	flat_load_b32 v3, v[112:113] scope:SCOPE_SYS
	s_wait_loadcnt_dscnt 0x0
	global_inv scope:SCOPE_SYS
	v_cmp_eq_u32_e32 vcc_lo, 0, v3
	s_and_b32 s45, vcc_lo, exec_lo
	s_delay_alu instid0(SALU_CYCLE_1)
	s_or_b32 s44, s44, s45
	s_mov_b32 s46, -1
	s_or_b32 s42, s42, exec_lo
	s_and_saveexec_b32 s45, s44
	s_cbranch_execz .LBB10_521
.LBB10_525:                             ;   in Loop: Header=BB10_522 Depth=3
	s_sleep 1
	s_trap 2
	ds_load_b64 v[112:113], v0
	s_wait_dscnt 0x0
	s_and_not1_b32 s42, s42, exec_lo
	v_cmp_ge_u64_e32 vcc_lo, v[112:113], v[14:15]
	s_or_not1_b32 s46, vcc_lo, exec_lo
	s_branch .LBB10_521
.LBB10_526:                             ;   in Loop: Header=BB10_469 Depth=2
	s_or_b32 exec_lo, exec_lo, s40
	s_and_saveexec_b32 s40, s41
	s_delay_alu instid0(SALU_CYCLE_1)
	s_xor_b32 s40, exec_lo, s40
	s_cbranch_execz .LBB10_528
; %bb.527:                              ;   in Loop: Header=BB10_469 Depth=2
	ds_store_b32 v0, v60
	s_trap 2
.LBB10_528:                             ;   in Loop: Header=BB10_469 Depth=2
	s_or_b32 exec_lo, exec_lo, s29
	;;#ASMSTART
	s_wakeup
	;;#ASMEND
.LBB10_529:                             ;   in Loop: Header=BB10_469 Depth=2
	s_or_b32 exec_lo, exec_lo, s28
.LBB10_530:                             ;   in Loop: Header=BB10_469 Depth=2
	s_and_not1_saveexec_b32 s17, s17
	s_cbranch_execz .LBB10_532
; %bb.531:                              ;   in Loop: Header=BB10_469 Depth=2
	;;#ASMSTART
	s_waitcnt lgkmcnt(0) vmcnt(0)
	;;#ASMEND
	s_barrier_signal -1
	s_barrier_wait -1
.LBB10_532:                             ;   in Loop: Header=BB10_469 Depth=2
	s_or_b32 exec_lo, exec_lo, s17
	v_and_b32_e32 v3, 16, v30
.LBB10_533:                             ;   in Loop: Header=BB10_469 Depth=2
	s_or_b32 exec_lo, exec_lo, s13
	s_delay_alu instid0(SALU_CYCLE_1) | instskip(NEXT) | instid1(VALU_DEP_1)
	s_mov_b32 s13, exec_lo
	v_cmpx_ne_u32_e32 0, v3
	s_cbranch_execz .LBB10_468
; %bb.534:                              ;   in Loop: Header=BB10_469 Depth=2
	s_and_saveexec_b32 s17, s4
	s_cbranch_execz .LBB10_467
; %bb.535:                              ;   in Loop: Header=BB10_469 Depth=2
	global_wb scope:SCOPE_SYS
	s_wait_storecnt 0x0
	s_wait_loadcnt_dscnt 0x0
	flat_store_b32 v[34:35], v60 scope:SCOPE_SYS
	s_branch .LBB10_467
.LBB10_536:                             ;   in Loop: Header=BB10_73 Depth=1
	s_or_b32 exec_lo, exec_lo, s15
.LBB10_537:                             ;   in Loop: Header=BB10_73 Depth=1
	s_delay_alu instid0(SALU_CYCLE_1)
	s_or_b32 exec_lo, exec_lo, s14
	s_and_not1_saveexec_b32 s14, s28
	s_cbranch_execnz .LBB10_251
.LBB10_538:                             ;   in Loop: Header=BB10_73 Depth=1
	s_or_b32 exec_lo, exec_lo, s14
	s_delay_alu instid0(SALU_CYCLE_1)
	s_and_not1_b32 vcc_lo, exec_lo, s24
	s_cbranch_vccz .LBB10_541
	s_branch .LBB10_801
.LBB10_539:                             ;   in Loop: Header=BB10_73 Depth=1
	s_or_b32 exec_lo, exec_lo, s16
.LBB10_540:                             ;   in Loop: Header=BB10_73 Depth=1
	s_delay_alu instid0(SALU_CYCLE_1) | instskip(NEXT) | instid1(SALU_CYCLE_1)
	s_or_b32 exec_lo, exec_lo, s15
	s_or_b32 exec_lo, exec_lo, s14
	s_delay_alu instid0(SALU_CYCLE_1)
	s_and_not1_b32 vcc_lo, exec_lo, s24
	s_cbranch_vccnz .LBB10_801
.LBB10_541:                             ;   in Loop: Header=BB10_73 Depth=1
	s_mov_b32 s28, 1
.LBB10_542:                             ;   Parent Loop BB10_73 Depth=1
                                        ; =>  This Loop Header: Depth=2
                                        ;       Child Loop BB10_545 Depth 3
                                        ;         Child Loop BB10_553 Depth 4
                                        ;         Child Loop BB10_581 Depth 4
	;; [unrolled: 1-line block ×5, first 2 shown]
                                        ;           Child Loop BB10_633 Depth 5
                                        ;         Child Loop BB10_642 Depth 4
                                        ;         Child Loop BB10_647 Depth 4
                                        ;           Child Loop BB10_648 Depth 5
                                        ;         Child Loop BB10_660 Depth 4
                                        ;         Child Loop BB10_665 Depth 4
	;; [unrolled: 1-line block ×6, first 2 shown]
                                        ;       Child Loop BB10_726 Depth 3
                                        ;         Child Loop BB10_732 Depth 4
                                        ;         Child Loop BB10_760 Depth 4
                                        ;         Child Loop BB10_779 Depth 4
	v_dual_mov_b32 v2, 0 :: v_dual_mov_b32 v114, v73
	v_mov_b32_e32 v112, 0
	s_and_saveexec_b32 s29, s12
	s_cbranch_execz .LBB10_723
; %bb.543:                              ;   in Loop: Header=BB10_542 Depth=2
	s_sub_co_i32 s13, s18, s28
	v_readfirstlane_b32 s14, v18
	v_dual_mov_b32 v2, s13 :: v_dual_mov_b32 v112, 0
	v_readfirstlane_b32 s15, v19
	s_mov_b32 s42, 1
	s_mov_b32 s41, -1
	s_mov_b32 s40, 0
	v_mov_b32_e32 v114, v73
	flat_load_b32 v2, v2, s[14:15] scale_offset
	s_wait_loadcnt_dscnt 0x0
	v_mad_nc_u64_u32 v[116:117], v20, v2, v[102:103]
	s_delay_alu instid0(VALU_DEP_1) | instskip(SKIP_2) | instid1(VALU_DEP_1)
	v_mad_u32 v3, v21, v2, v117
	s_wait_xcnt 0x0
	v_ashrrev_i32_e32 v2, 31, v2
	v_mad_u32 v117, v20, v2, v3
	s_branch .LBB10_545
.LBB10_544:                             ;   in Loop: Header=BB10_545 Depth=3
	s_wait_xcnt 0x0
	s_or_b32 exec_lo, exec_lo, s13
	v_dual_add_nc_u32 v112, v114, v112 :: v_dual_mov_b32 v2, s42
	s_xor_b32 s13, s41, -1
	s_mov_b32 s41, 0
	s_mov_b32 s42, 2
	s_delay_alu instid0(VALU_DEP_1) | instskip(SKIP_1) | instid1(SALU_CYCLE_1)
	v_cmp_ge_i32_e32 vcc_lo, v112, v72
	s_or_b32 s13, s13, vcc_lo
	s_and_b32 s13, exec_lo, s13
	s_delay_alu instid0(SALU_CYCLE_1) | instskip(NEXT) | instid1(SALU_CYCLE_1)
	s_or_b32 s40, s13, s40
	s_and_not1_b32 exec_lo, exec_lo, s40
	s_cbranch_execz .LBB10_722
.LBB10_545:                             ;   Parent Loop BB10_73 Depth=1
                                        ;     Parent Loop BB10_542 Depth=2
                                        ; =>    This Loop Header: Depth=3
                                        ;         Child Loop BB10_553 Depth 4
                                        ;         Child Loop BB10_581 Depth 4
	;; [unrolled: 1-line block ×5, first 2 shown]
                                        ;           Child Loop BB10_633 Depth 5
                                        ;         Child Loop BB10_642 Depth 4
                                        ;         Child Loop BB10_647 Depth 4
                                        ;           Child Loop BB10_648 Depth 5
                                        ;         Child Loop BB10_660 Depth 4
                                        ;         Child Loop BB10_665 Depth 4
                                        ;         Child Loop BB10_673 Depth 4
                                        ;         Child Loop BB10_678 Depth 4
                                        ;         Child Loop BB10_688 Depth 4
                                        ;         Child Loop BB10_707 Depth 4
	s_and_saveexec_b32 s13, s0
	s_cbranch_execz .LBB10_547
; %bb.546:                              ;   in Loop: Header=BB10_545 Depth=3
	s_trap 2
	ds_load_b128 v[2:5], v0
	s_wait_dscnt 0x0
	v_add_nc_u64_e32 v[118:119], v[4:5], v[116:117]
	v_cmp_ne_u64_e32 vcc_lo, 0, v[4:5]
	v_ashrrev_i32_e32 v113, 31, v112
	v_add_nc_u64_e32 v[2:3], v[2:3], v[116:117]
	s_delay_alu instid0(VALU_DEP_2) | instskip(NEXT) | instid1(VALU_DEP_1)
	v_add_nc_u64_e32 v[118:119], v[118:119], v[112:113]
	v_cndmask_b32_e32 v5, 0, v119, vcc_lo
	s_delay_alu instid0(VALU_DEP_3) | instskip(NEXT) | instid1(VALU_DEP_3)
	v_add_nc_u64_e32 v[2:3], v[2:3], v[112:113]
	v_cndmask_b32_e32 v4, 0, v118, vcc_lo
	ds_store_b64 v0, v[2:3]
	ds_store_b64 v0, v[4:5]
.LBB10_547:                             ;   in Loop: Header=BB10_545 Depth=3
	s_or_b32 exec_lo, exec_lo, s13
	v_dual_sub_nc_u32 v2, v72, v112 :: v_dual_bitop2_b32 v3, 12, v30 bitop3:0x40
	s_mov_b32 s14, exec_lo
	s_delay_alu instid0(VALU_DEP_1) | instskip(NEXT) | instid1(VALU_DEP_2)
	v_min_i32_e32 v114, v114, v2
	v_cmpx_ne_u32_e32 0, v3
	s_cbranch_execz .LBB10_573
; %bb.548:                              ;   in Loop: Header=BB10_545 Depth=3
	v_and_b32_e32 v48, 8, v30
	v_add_nc_u64_e32 v[2:3], 2, v[100:101]
	s_mov_b32 s15, exec_lo
	s_wait_loadcnt 0x0
	s_delay_alu instid0(VALU_DEP_2) | instskip(NEXT) | instid1(VALU_DEP_1)
	v_add_nc_u64_e32 v[4:5], v[36:37], v[48:49]
	v_cmpx_lt_u64_e64 v[4:5], v[2:3]
	s_cbranch_execz .LBB10_560
; %bb.549:                              ;   in Loop: Header=BB10_545 Depth=3
	v_and_b32_e32 v4, 64, v30
	s_mov_b32 s16, 0
	s_mov_b32 s45, 0
                                        ; implicit-def: $sgpr17
                                        ; implicit-def: $sgpr43
                                        ; implicit-def: $sgpr44
	s_delay_alu instid0(VALU_DEP_1)
	v_cmp_eq_u32_e32 vcc_lo, 0, v4
	s_branch .LBB10_553
.LBB10_550:                             ;   in Loop: Header=BB10_553 Depth=4
	s_wait_loadcnt_dscnt 0x0
	v_add_nc_u64_e32 v[118:119], v[36:37], v[48:49]
	s_or_b32 s56, s56, exec_lo
	s_delay_alu instid0(VALU_DEP_1)
	v_cmp_ge_u64_e64 s13, v[118:119], v[2:3]
	s_or_not1_b32 s47, s13, exec_lo
.LBB10_551:                             ;   in Loop: Header=BB10_553 Depth=4
	s_or_b32 exec_lo, exec_lo, s58
	s_delay_alu instid0(SALU_CYCLE_1)
	s_and_not1_b32 s13, s44, exec_lo
	s_and_b32 s44, s56, exec_lo
	s_and_not1_b32 s43, s43, exec_lo
	s_and_b32 s47, s47, exec_lo
	s_or_b32 s44, s13, s44
	s_or_b32 s43, s43, s47
.LBB10_552:                             ;   in Loop: Header=BB10_553 Depth=4
	s_or_b32 exec_lo, exec_lo, s46
	s_delay_alu instid0(SALU_CYCLE_1) | instskip(NEXT) | instid1(SALU_CYCLE_1)
	s_and_b32 s13, exec_lo, s43
	s_or_b32 s16, s13, s16
	s_and_not1_b32 s13, s17, exec_lo
	s_and_b32 s17, s44, exec_lo
	s_delay_alu instid0(SALU_CYCLE_1)
	s_or_b32 s17, s13, s17
	s_and_not1_b32 exec_lo, exec_lo, s16
	s_cbranch_execz .LBB10_557
.LBB10_553:                             ;   Parent Loop BB10_73 Depth=1
                                        ;     Parent Loop BB10_542 Depth=2
                                        ;       Parent Loop BB10_545 Depth=3
                                        ; =>      This Inner Loop Header: Depth=4
	s_sleep 1
	s_wait_loadcnt_dscnt 0x0
	flat_load_b64 v[36:37], v[26:27] scope:SCOPE_SYS
	s_or_b32 s44, s44, exec_lo
	s_or_b32 s43, s43, exec_lo
                                        ; implicit-def: $vgpr4
	s_wait_xcnt 0x0
	s_and_saveexec_b32 s46, vcc_lo
	s_cbranch_execz .LBB10_552
; %bb.554:                              ;   in Loop: Header=BB10_553 Depth=4
	s_cmp_lt_i32 s45, 0x270f
	s_mov_b32 s47, -1
	s_cselect_b32 s57, -1, 0
	s_cmp_gt_i32 s45, 0x270e
	s_cbranch_scc0 .LBB10_556
; %bb.555:                              ;   in Loop: Header=BB10_553 Depth=4
	s_trap 2
	ds_load_b64 v[4:5], v0
	s_and_not1_b32 s45, s57, exec_lo
	s_mov_b32 s56, 0
	s_wait_storecnt 0x0
	s_wait_loadcnt_dscnt 0x0
	flat_load_b32 v4, v[4:5] scope:SCOPE_SYS
	s_wait_loadcnt_dscnt 0x0
	global_inv scope:SCOPE_SYS
	v_cmp_eq_u32_e64 s13, 0, v4
	s_and_b32 s13, s13, exec_lo
	s_delay_alu instid0(SALU_CYCLE_1)
	s_or_b32 s57, s45, s13
	s_mov_b32 s45, 0
	s_and_saveexec_b32 s58, s57
	s_cbranch_execz .LBB10_551
	s_branch .LBB10_550
.LBB10_556:                             ;   in Loop: Header=BB10_553 Depth=4
	s_add_co_i32 s45, s45, 1
	s_mov_b32 s56, -1
                                        ; implicit-def: $vgpr4
	s_and_saveexec_b32 s58, s57
	s_cbranch_execz .LBB10_551
	s_branch .LBB10_550
.LBB10_557:                             ;   in Loop: Header=BB10_545 Depth=3
	s_or_b32 exec_lo, exec_lo, s16
	s_xor_b32 s13, s17, -1
	s_delay_alu instid0(SALU_CYCLE_1) | instskip(NEXT) | instid1(SALU_CYCLE_1)
	s_and_saveexec_b32 s16, s13
	s_xor_b32 s13, exec_lo, s16
	s_cbranch_execz .LBB10_559
; %bb.558:                              ;   in Loop: Header=BB10_545 Depth=3
	v_or_b32_e32 v30, 64, v30
	s_wait_storecnt 0x0
	s_wait_loadcnt_dscnt 0x0
	ds_store_b32 v0, v4
	s_trap 2
.LBB10_559:                             ;   in Loop: Header=BB10_545 Depth=3
	s_or_b32 exec_lo, exec_lo, s13
.LBB10_560:                             ;   in Loop: Header=BB10_545 Depth=3
	s_delay_alu instid0(SALU_CYCLE_1) | instskip(SKIP_2) | instid1(VALU_DEP_1)
	s_or_b32 exec_lo, exec_lo, s15
	v_and_b32_e32 v4, 0x108, v30
	;;#ASMSTART
	s_wakeup
	;;#ASMEND
	v_cmp_ne_u32_e32 vcc_lo, 0x108, v4
                                        ; implicit-def: $vgpr4_vgpr5
	s_and_saveexec_b32 s13, vcc_lo
	s_delay_alu instid0(SALU_CYCLE_1)
	s_xor_b32 s13, exec_lo, s13
; %bb.561:                              ;   in Loop: Header=BB10_545 Depth=3
	v_dual_mov_b32 v5, v49 :: v_dual_bitop2_b32 v4, 7, v100 bitop3:0x40
                                        ; implicit-def: $vgpr100_vgpr101
; %bb.562:                              ;   in Loop: Header=BB10_545 Depth=3
	s_and_not1_saveexec_b32 s13, s13
	s_cbranch_execz .LBB10_564
; %bb.563:                              ;   in Loop: Header=BB10_545 Depth=3
	v_dual_ashrrev_i32 v115, 31, v114 :: v_dual_bitop2_b32 v4, 7, v100 bitop3:0x40
	v_mov_b32_e32 v5, v49
	s_delay_alu instid0(VALU_DEP_2)
	v_mad_nc_u64_u32 v[100:101], v4, 24, v[12:13]
	flat_store_b64 v[100:101], v[114:115] offset:8
.LBB10_564:                             ;   in Loop: Header=BB10_545 Depth=3
	s_wait_xcnt 0x0
	s_or_b32 exec_lo, exec_lo, s13
	v_and_b32_e32 v100, 0x100, v30
	s_mov_b32 s13, -1
	s_delay_alu instid0(VALU_DEP_1)
	v_cmp_ne_u32_e32 vcc_lo, 0, v100
                                        ; implicit-def: $vgpr100_vgpr101
	s_and_saveexec_b32 s15, vcc_lo
	s_cbranch_execz .LBB10_568
; %bb.565:                              ;   in Loop: Header=BB10_545 Depth=3
	v_mad_nc_u64_u32 v[118:119], v4, 24, v[12:13]
	s_delay_alu instid0(VALU_DEP_1)
	v_mad_u32 v119, v5, 24, v119
	flat_load_b32 v100, v[118:119]
	s_wait_loadcnt_dscnt 0x0
	v_cmp_eq_u32_e64 s13, 1, v100
	v_cmp_ne_u32_e32 vcc_lo, 1, v100
                                        ; implicit-def: $vgpr100_vgpr101
	s_wait_xcnt 0x0
	s_and_saveexec_b32 s16, s13
	s_cbranch_execz .LBB10_567
; %bb.566:                              ;   in Loop: Header=BB10_545 Depth=3
	flat_load_b32 v100, v[118:119] offset:4 scope:SCOPE_SYS
	s_wait_loadcnt_dscnt 0x0
	v_ashrrev_i32_e32 v101, 31, v100
.LBB10_567:                             ;   in Loop: Header=BB10_545 Depth=3
	s_wait_xcnt 0x0
	s_or_b32 exec_lo, exec_lo, s16
	s_delay_alu instid0(SALU_CYCLE_1)
	s_or_not1_b32 s13, vcc_lo, exec_lo
.LBB10_568:                             ;   in Loop: Header=BB10_545 Depth=3
	s_or_b32 exec_lo, exec_lo, s15
	s_and_saveexec_b32 s15, s13
; %bb.569:                              ;   in Loop: Header=BB10_545 Depth=3
	v_mul_u64_e32 v[100:101], v[4:5], v[28:29]
; %bb.570:                              ;   in Loop: Header=BB10_545 Depth=3
	s_or_b32 exec_lo, exec_lo, s15
	v_cmp_eq_u32_e32 vcc_lo, 0, v48
	s_delay_alu instid0(VALU_DEP_2) | instskip(SKIP_3) | instid1(VALU_DEP_1)
	v_add_nc_u64_e32 v[4:5], v[32:33], v[100:101]
	v_and_b32_e32 v113, 0x2000, v30
	s_mov_b32 s13, exec_lo
	v_cndmask_b32_e32 v48, 0xd0, v61, vcc_lo
	v_add_nc_u32_e32 v48, v0, v48
	ds_store_b64 v48, v[4:5] offset:584
	v_cmpx_ne_u32_e32 0, v113
	s_cbranch_execz .LBB10_572
; %bb.571:                              ;   in Loop: Header=BB10_545 Depth=3
	ds_load_b64 v[4:5], v0 offset:872
	s_wait_dscnt 0x0
	v_add_nc_u64_e32 v[4:5], 1, v[4:5]
	ds_store_b64 v0, v[4:5] offset:872
.LBB10_572:                             ;   in Loop: Header=BB10_545 Depth=3
	s_or_b32 exec_lo, exec_lo, s13
	v_mov_b64_e32 v[100:101], v[2:3]
.LBB10_573:                             ;   in Loop: Header=BB10_545 Depth=3
	s_or_b32 exec_lo, exec_lo, s14
	s_and_saveexec_b32 s13, s1
	s_cbranch_execz .LBB10_592
; %bb.574:                              ;   in Loop: Header=BB10_545 Depth=3
	s_and_saveexec_b32 s14, s2
	s_delay_alu instid0(SALU_CYCLE_1)
	s_xor_b32 s14, exec_lo, s14
	s_cbranch_execz .LBB10_589
; %bb.575:                              ;   in Loop: Header=BB10_545 Depth=3
	s_and_saveexec_b32 s15, s5
	s_cbranch_execz .LBB10_588
; %bb.576:                              ;   in Loop: Header=BB10_545 Depth=3
	s_mov_b32 s17, exec_lo
	s_mov_b32 s16, exec_lo
	v_mbcnt_lo_u32_b32 v2, s17, 0
	global_wb scope:SCOPE_DEV
	s_wait_storecnt 0x0
	s_wait_loadcnt_dscnt 0x0
	global_inv scope:SCOPE_DEV
	v_cmpx_eq_u32_e32 0, v2
	s_cbranch_execz .LBB10_578
; %bb.577:                              ;   in Loop: Header=BB10_545 Depth=3
	s_bcnt1_i32_b32 s17, s17
	s_delay_alu instid0(SALU_CYCLE_1)
	v_mov_b32_e32 v48, s17
	s_wait_loadcnt 0x0
	ds_add_u64 v0, v[48:49]
	s_trap 2
.LBB10_578:                             ;   in Loop: Header=BB10_545 Depth=3
	s_or_b32 exec_lo, exec_lo, s16
	s_trap 2
	ds_load_b64 v[2:3], v0
	s_wait_dscnt 0x0
	v_add_nc_u64_e32 v[14:15], v[14:15], v[50:51]
	s_mov_b32 s16, exec_lo
	s_delay_alu instid0(VALU_DEP_1)
	v_cmpx_lt_u64_e64 v[2:3], v[14:15]
	s_cbranch_execz .LBB10_587
; %bb.579:                              ;   in Loop: Header=BB10_545 Depth=3
	s_mov_b32 s17, 0
	s_mov_b32 s45, 0
                                        ; implicit-def: $sgpr43
                                        ; implicit-def: $sgpr44
	s_branch .LBB10_581
.LBB10_580:                             ;   in Loop: Header=BB10_581 Depth=4
	s_or_b32 exec_lo, exec_lo, s47
	s_delay_alu instid0(SALU_CYCLE_1) | instskip(NEXT) | instid1(SALU_CYCLE_1)
	s_and_b32 s46, exec_lo, s56
	s_or_b32 s17, s46, s17
	s_and_not1_b32 s43, s43, exec_lo
	s_and_b32 s46, s44, exec_lo
	s_delay_alu instid0(SALU_CYCLE_1)
	s_or_b32 s43, s43, s46
	s_and_not1_b32 exec_lo, exec_lo, s17
	s_cbranch_execz .LBB10_585
.LBB10_581:                             ;   Parent Loop BB10_73 Depth=1
                                        ;     Parent Loop BB10_542 Depth=2
                                        ;       Parent Loop BB10_545 Depth=3
                                        ; =>      This Inner Loop Header: Depth=4
	s_add_co_i32 s45, s45, 1
	s_delay_alu instid0(SALU_CYCLE_1) | instskip(SKIP_1) | instid1(SALU_CYCLE_1)
	s_cmp_lg_u32 s45, 0x2710
	s_cselect_b32 s46, -1, 0
	s_and_b32 vcc_lo, exec_lo, s46
	s_cbranch_vccz .LBB10_583
; %bb.582:                              ;   in Loop: Header=BB10_581 Depth=4
	s_mov_b32 s56, -1
	s_or_b32 s44, s44, exec_lo
	s_and_saveexec_b32 s47, s46
	s_cbranch_execz .LBB10_580
	s_branch .LBB10_584
.LBB10_583:                             ;   in Loop: Header=BB10_581 Depth=4
	s_trap 2
	ds_load_b64 v[2:3], v0
	s_and_not1_b32 s46, s46, exec_lo
	s_mov_b32 s45, 0
	s_wait_loadcnt_dscnt 0x0
	flat_load_b32 v2, v[2:3] scope:SCOPE_SYS
	s_wait_loadcnt_dscnt 0x0
	global_inv scope:SCOPE_SYS
	v_cmp_eq_u32_e32 vcc_lo, 0, v2
	s_and_b32 s47, vcc_lo, exec_lo
	s_delay_alu instid0(SALU_CYCLE_1)
	s_or_b32 s46, s46, s47
	s_mov_b32 s56, -1
	s_or_b32 s44, s44, exec_lo
	s_and_saveexec_b32 s47, s46
	s_cbranch_execz .LBB10_580
.LBB10_584:                             ;   in Loop: Header=BB10_581 Depth=4
	s_sleep 1
	s_trap 2
	ds_load_b64 v[2:3], v0
	s_wait_dscnt 0x0
	s_and_not1_b32 s44, s44, exec_lo
	v_cmp_ge_u64_e32 vcc_lo, v[2:3], v[14:15]
	s_or_not1_b32 s56, vcc_lo, exec_lo
	s_branch .LBB10_580
.LBB10_585:                             ;   in Loop: Header=BB10_545 Depth=3
	s_or_b32 exec_lo, exec_lo, s17
	s_and_saveexec_b32 s17, s43
	s_delay_alu instid0(SALU_CYCLE_1)
	s_xor_b32 s17, exec_lo, s17
	s_cbranch_execz .LBB10_587
; %bb.586:                              ;   in Loop: Header=BB10_545 Depth=3
	ds_store_b32 v0, v60
	s_trap 2
.LBB10_587:                             ;   in Loop: Header=BB10_545 Depth=3
	s_or_b32 exec_lo, exec_lo, s16
	;;#ASMSTART
	s_wakeup
	;;#ASMEND
.LBB10_588:                             ;   in Loop: Header=BB10_545 Depth=3
	s_or_b32 exec_lo, exec_lo, s15
.LBB10_589:                             ;   in Loop: Header=BB10_545 Depth=3
	s_and_not1_saveexec_b32 s14, s14
	s_cbranch_execz .LBB10_591
; %bb.590:                              ;   in Loop: Header=BB10_545 Depth=3
	global_wb scope:SCOPE_DEV
	s_wait_storecnt 0x0
	s_wait_loadcnt_dscnt 0x0
	global_inv scope:SCOPE_DEV
	s_barrier_signal -1
	s_barrier_wait -1
.LBB10_591:                             ;   in Loop: Header=BB10_545 Depth=3
	s_or_b32 exec_lo, exec_lo, s14
.LBB10_592:                             ;   in Loop: Header=BB10_545 Depth=3
	s_delay_alu instid0(SALU_CYCLE_1) | instskip(SKIP_3) | instid1(VALU_DEP_1)
	s_or_b32 exec_lo, exec_lo, s13
	s_trap 2
	ds_load_b32 v2, v0
	v_and_b32_e32 v3, 0x4000, v30
	v_cmp_ne_u32_e32 vcc_lo, 0, v3
	s_and_b32 s14, s27, vcc_lo
	s_delay_alu instid0(SALU_CYCLE_1)
	s_and_saveexec_b32 s13, s14
	s_cbranch_execz .LBB10_611
; %bb.593:                              ;   in Loop: Header=BB10_545 Depth=3
	s_and_saveexec_b32 s14, s2
	s_delay_alu instid0(SALU_CYCLE_1)
	s_xor_b32 s14, exec_lo, s14
	s_cbranch_execz .LBB10_608
; %bb.594:                              ;   in Loop: Header=BB10_545 Depth=3
	s_and_saveexec_b32 s15, s5
	s_cbranch_execz .LBB10_607
; %bb.595:                              ;   in Loop: Header=BB10_545 Depth=3
	s_mov_b32 s17, exec_lo
	s_mov_b32 s16, exec_lo
	v_mbcnt_lo_u32_b32 v3, s17, 0
	global_wb scope:SCOPE_DEV
	s_wait_storecnt 0x0
	s_wait_loadcnt_dscnt 0x0
	global_inv scope:SCOPE_DEV
	v_cmpx_eq_u32_e32 0, v3
	s_cbranch_execz .LBB10_597
; %bb.596:                              ;   in Loop: Header=BB10_545 Depth=3
	s_bcnt1_i32_b32 s17, s17
	s_delay_alu instid0(SALU_CYCLE_1)
	v_mov_b32_e32 v48, s17
	s_wait_loadcnt 0x0
	ds_add_u64 v0, v[48:49]
	s_trap 2
.LBB10_597:                             ;   in Loop: Header=BB10_545 Depth=3
	s_or_b32 exec_lo, exec_lo, s16
	s_trap 2
	ds_load_b64 v[4:5], v0
	s_wait_dscnt 0x0
	v_add_nc_u64_e32 v[14:15], v[14:15], v[50:51]
	s_mov_b32 s16, exec_lo
	s_delay_alu instid0(VALU_DEP_1)
	v_cmpx_lt_u64_e64 v[4:5], v[14:15]
	s_cbranch_execz .LBB10_606
; %bb.598:                              ;   in Loop: Header=BB10_545 Depth=3
	s_mov_b32 s17, 0
	s_mov_b32 s45, 0
                                        ; implicit-def: $sgpr43
                                        ; implicit-def: $sgpr44
	s_branch .LBB10_600
.LBB10_599:                             ;   in Loop: Header=BB10_600 Depth=4
	s_or_b32 exec_lo, exec_lo, s47
	s_delay_alu instid0(SALU_CYCLE_1) | instskip(NEXT) | instid1(SALU_CYCLE_1)
	s_and_b32 s46, exec_lo, s56
	s_or_b32 s17, s46, s17
	s_and_not1_b32 s43, s43, exec_lo
	s_and_b32 s46, s44, exec_lo
	s_delay_alu instid0(SALU_CYCLE_1)
	s_or_b32 s43, s43, s46
	s_and_not1_b32 exec_lo, exec_lo, s17
	s_cbranch_execz .LBB10_604
.LBB10_600:                             ;   Parent Loop BB10_73 Depth=1
                                        ;     Parent Loop BB10_542 Depth=2
                                        ;       Parent Loop BB10_545 Depth=3
                                        ; =>      This Inner Loop Header: Depth=4
	s_add_co_i32 s45, s45, 1
	s_delay_alu instid0(SALU_CYCLE_1) | instskip(SKIP_1) | instid1(SALU_CYCLE_1)
	s_cmp_lg_u32 s45, 0x2710
	s_cselect_b32 s46, -1, 0
	s_and_b32 vcc_lo, exec_lo, s46
	s_cbranch_vccz .LBB10_602
; %bb.601:                              ;   in Loop: Header=BB10_600 Depth=4
	s_mov_b32 s56, -1
	s_or_b32 s44, s44, exec_lo
	s_and_saveexec_b32 s47, s46
	s_cbranch_execz .LBB10_599
	s_branch .LBB10_603
.LBB10_602:                             ;   in Loop: Header=BB10_600 Depth=4
	s_trap 2
	ds_load_b64 v[4:5], v0
	s_and_not1_b32 s46, s46, exec_lo
	s_mov_b32 s45, 0
	s_wait_loadcnt_dscnt 0x0
	flat_load_b32 v3, v[4:5] scope:SCOPE_SYS
	s_wait_loadcnt_dscnt 0x0
	global_inv scope:SCOPE_SYS
	v_cmp_eq_u32_e32 vcc_lo, 0, v3
	s_and_b32 s47, vcc_lo, exec_lo
	s_delay_alu instid0(SALU_CYCLE_1)
	s_or_b32 s46, s46, s47
	s_mov_b32 s56, -1
	s_or_b32 s44, s44, exec_lo
	s_and_saveexec_b32 s47, s46
	s_cbranch_execz .LBB10_599
.LBB10_603:                             ;   in Loop: Header=BB10_600 Depth=4
	s_sleep 1
	s_trap 2
	ds_load_b64 v[4:5], v0
	s_wait_dscnt 0x0
	s_and_not1_b32 s44, s44, exec_lo
	v_cmp_ge_u64_e32 vcc_lo, v[4:5], v[14:15]
	s_or_not1_b32 s56, vcc_lo, exec_lo
	s_branch .LBB10_599
.LBB10_604:                             ;   in Loop: Header=BB10_545 Depth=3
	s_or_b32 exec_lo, exec_lo, s17
	s_and_saveexec_b32 s17, s43
	s_delay_alu instid0(SALU_CYCLE_1)
	s_xor_b32 s17, exec_lo, s17
	s_cbranch_execz .LBB10_606
; %bb.605:                              ;   in Loop: Header=BB10_545 Depth=3
	ds_store_b32 v0, v60
	s_trap 2
.LBB10_606:                             ;   in Loop: Header=BB10_545 Depth=3
	s_or_b32 exec_lo, exec_lo, s16
	;;#ASMSTART
	s_wakeup
	;;#ASMEND
.LBB10_607:                             ;   in Loop: Header=BB10_545 Depth=3
	s_or_b32 exec_lo, exec_lo, s15
.LBB10_608:                             ;   in Loop: Header=BB10_545 Depth=3
	s_and_not1_saveexec_b32 s14, s14
	s_cbranch_execz .LBB10_610
; %bb.609:                              ;   in Loop: Header=BB10_545 Depth=3
	global_wb scope:SCOPE_DEV
	s_wait_storecnt 0x0
	s_wait_loadcnt_dscnt 0x0
	global_inv scope:SCOPE_DEV
	s_barrier_signal -1
	s_barrier_wait -1
.LBB10_610:                             ;   in Loop: Header=BB10_545 Depth=3
	s_or_b32 exec_lo, exec_lo, s14
.LBB10_611:                             ;   in Loop: Header=BB10_545 Depth=3
	s_delay_alu instid0(SALU_CYCLE_1)
	s_or_b32 exec_lo, exec_lo, s13
	s_trap 2
	ds_load_b64 v[118:119], v0
	s_wait_dscnt 0x0
	v_cmp_eq_u64_e32 vcc_lo, 0, v[118:119]
	s_cbranch_vccnz .LBB10_620
; %bb.612:                              ;   in Loop: Header=BB10_545 Depth=3
	s_trap 2
	ds_load_b64 v[40:41], v0
	s_wait_dscnt 0x0
	v_cmp_eq_u64_e32 vcc_lo, 0, v[40:41]
	s_cbranch_vccnz .LBB10_620
; %bb.613:                              ;   in Loop: Header=BB10_545 Depth=3
	s_trap 2
	ds_load_b64 v[42:43], v0
	v_cmp_eq_u32_e64 s13, 0, v2
	s_delay_alu instid0(VALU_DEP_1)
	v_cndmask_b32_e64 v48, 0, v114, s13
	s_mov_b32 s13, -1
	s_wait_dscnt 0x0
	v_cmp_ne_u64_e32 vcc_lo, 0, v[42:43]
	s_cbranch_vccz .LBB10_651
; %bb.614:                              ;   in Loop: Header=BB10_545 Depth=3
	s_and_saveexec_b32 s14, s11
	s_cbranch_execz .LBB10_616
; %bb.615:                              ;   in Loop: Header=BB10_545 Depth=3
	ds_load_b32 v2, v0 offset:720
	s_wait_dscnt 0x0
	v_and_b32_e32 v2, 15, v2
	s_delay_alu instid0(VALU_DEP_1)
	v_cmp_eq_u32_e32 vcc_lo, 0, v2
	s_or_not1_b32 s13, vcc_lo, exec_lo
.LBB10_616:                             ;   in Loop: Header=BB10_545 Depth=3
	s_or_b32 exec_lo, exec_lo, s14
	s_and_saveexec_b32 s14, s7
	s_cbranch_execz .LBB10_618
; %bb.617:                              ;   in Loop: Header=BB10_545 Depth=3
	ds_load_b32 v2, v0 offset:784
	s_wait_dscnt 0x0
	v_and_b32_e32 v2, 15, v2
	s_delay_alu instid0(VALU_DEP_1) | instskip(SKIP_3) | instid1(SALU_CYCLE_1)
	v_cmp_eq_u32_e32 vcc_lo, 0, v2
	s_and_b32 s15, s13, vcc_lo
	s_and_not1_b32 s13, s13, exec_lo
	s_and_b32 s15, s15, exec_lo
	s_or_b32 s13, s13, s15
.LBB10_618:                             ;   in Loop: Header=BB10_545 Depth=3
	s_or_b32 exec_lo, exec_lo, s14
	s_xor_b32 s13, s13, -1
	v_dual_mov_b32 v113, 0 :: v_dual_mov_b32 v115, v48
	v_cndmask_b32_e64 v2, 0, 1, s13
	v_mov_b32_e32 v44, v0
	s_mov_b32 s13, -1
	s_delay_alu instid0(VALU_DEP_2)
	v_cmp_ne_u32_e32 vcc_lo, 0, v2
	v_mov_b32_e32 v2, v62
	s_cbranch_vccz .LBB10_625
; %bb.619:                              ;   in Loop: Header=BB10_545 Depth=3
	s_and_saveexec_b32 s15, s13
	s_cbranch_execnz .LBB10_640
	s_branch .LBB10_650
.LBB10_620:                             ;   in Loop: Header=BB10_545 Depth=3
	s_mov_b32 s13, 0
	s_and_saveexec_b32 s14, s1
	s_cbranch_execnz .LBB10_681
.LBB10_621:                             ;   in Loop: Header=BB10_545 Depth=3
	s_or_b32 exec_lo, exec_lo, s14
                                        ; implicit-def: $vgpr2
	s_and_saveexec_b32 s14, s10
	s_delay_alu instid0(SALU_CYCLE_1)
	s_xor_b32 s14, exec_lo, s14
	s_cbranch_execz .LBB10_699
.LBB10_622:                             ;   in Loop: Header=BB10_545 Depth=3
	v_and_b32_e32 v2, 16, v30
	s_delay_alu instid0(VALU_DEP_1) | instskip(SKIP_2) | instid1(SALU_CYCLE_1)
	v_cmp_ne_u32_e32 vcc_lo, 0, v2
	v_and_b32_e32 v2, 16, v30
	s_and_b32 s15, vcc_lo, s13
	s_and_saveexec_b32 s13, s15
	s_cbranch_execz .LBB10_624
; %bb.623:                              ;   in Loop: Header=BB10_545 Depth=3
	v_mov_b32_e32 v2, 1
	global_wb scope:SCOPE_SYS
	s_wait_storecnt 0x0
	s_wait_loadcnt_dscnt 0x0
	global_inv scope:SCOPE_SYS
.LBB10_624:                             ;   in Loop: Header=BB10_545 Depth=3
	s_or_b32 exec_lo, exec_lo, s13
	s_and_not1_saveexec_b32 s13, s14
	s_cbranch_execz .LBB10_718
	s_branch .LBB10_700
.LBB10_625:                             ;   in Loop: Header=BB10_545 Depth=3
	v_ashrrev_i32_e32 v2, 31, v48
	s_mov_b32 s13, exec_lo
	s_delay_alu instid0(VALU_DEP_1) | instskip(NEXT) | instid1(VALU_DEP_1)
	v_lshrrev_b32_e32 v2, 22, v2
	v_add_nc_u32_e32 v2, v48, v2
	s_delay_alu instid0(VALU_DEP_1) | instskip(NEXT) | instid1(VALU_DEP_1)
	v_ashrrev_i32_e32 v113, 10, v2
	v_sub_nc_u32_e32 v46, v113, v62
	s_delay_alu instid0(VALU_DEP_1)
	v_cmpx_lt_i32_e32 0, v46
	s_cbranch_execz .LBB10_629
; %bb.626:                              ;   in Loop: Header=BB10_545 Depth=3
	v_add_nc_u64_e32 v[2:3], v[118:119], v[84:85]
	v_add_nc_u64_e32 v[4:5], v[40:41], v[84:85]
	;; [unrolled: 1-line block ×3, first 2 shown]
	s_mov_b32 s14, 0
.LBB10_627:                             ;   Parent Loop BB10_73 Depth=1
                                        ;     Parent Loop BB10_542 Depth=2
                                        ;       Parent Loop BB10_545 Depth=3
                                        ; =>      This Inner Loop Header: Depth=4
	s_clause 0x1
	global_load_b128 v[74:77], v[2:3], off th:TH_LOAD_NT
	global_load_b128 v[88:91], v[2:3], off offset:512 th:TH_LOAD_NT
	v_sub_nc_u32_e32 v46, v46, v50
	s_wait_xcnt 0x0
	v_add_nc_u64_e32 v[2:3], v[2:3], v[64:65]
	s_wait_loadcnt 0x1
	global_store_b128 v[4:5], v[74:77], off th:TH_STORE_NT
	s_wait_loadcnt 0x0
	global_store_b128 v[4:5], v[88:91], off offset:512 th:TH_STORE_NT
	s_clause 0x1
	global_store_b128 v[44:45], v[74:77], off th:TH_STORE_NT
	global_store_b128 v[44:45], v[88:91], off offset:512 th:TH_STORE_NT
	v_cmp_gt_i32_e32 vcc_lo, 1, v46
	s_wait_xcnt 0x2
	v_add_nc_u64_e32 v[4:5], v[4:5], v[64:65]
	s_wait_xcnt 0x0
	v_add_nc_u64_e32 v[44:45], v[44:45], v[64:65]
	s_or_b32 s14, vcc_lo, s14
	s_delay_alu instid0(SALU_CYCLE_1)
	s_and_not1_b32 exec_lo, exec_lo, s14
	s_cbranch_execnz .LBB10_627
; %bb.628:                              ;   in Loop: Header=BB10_545 Depth=3
	s_or_b32 exec_lo, exec_lo, s14
.LBB10_629:                             ;   in Loop: Header=BB10_545 Depth=3
	s_delay_alu instid0(SALU_CYCLE_1) | instskip(SKIP_3) | instid1(VALU_DEP_1)
	s_or_b32 exec_lo, exec_lo, s13
	v_dual_mov_b32 v113, 0 :: v_dual_lshlrev_b32 v74, 10, v113
	s_mov_b32 s13, 0
	s_mov_b32 s43, exec_lo
                                        ; implicit-def: $vgpr115
                                        ; implicit-def: $vgpr44
                                        ; implicit-def: $vgpr2
	v_cmpx_ne_u32_e64 v48, v74
	s_cbranch_execz .LBB10_639
; %bb.630:                              ;   in Loop: Header=BB10_545 Depth=3
	v_lshlrev_b32_e32 v2, 5, v46
	v_sub_nc_u32_e32 v4, v48, v74
	s_mov_b32 s44, exec_lo
	s_delay_alu instid0(VALU_DEP_1) | instskip(NEXT) | instid1(VALU_DEP_1)
	v_dual_sub_nc_u32 v2, v63, v2 :: v_dual_ashrrev_i32 v5, 31, v4
	v_dual_ashrrev_i32 v3, 31, v2 :: v_dual_lshrrev_b32 v5, 23, v5
	s_delay_alu instid0(VALU_DEP_1) | instskip(NEXT) | instid1(VALU_DEP_1)
	v_lshrrev_b32_e32 v3, 27, v3
	v_dual_add_nc_u32 v3, v2, v3 :: v_dual_add_nc_u32 v5, v4, v5
	s_delay_alu instid0(VALU_DEP_1) | instskip(SKIP_1) | instid1(VALU_DEP_3)
	v_and_b32_e32 v113, 0xffffffe0, v3
	v_ashrrev_i32_e32 v3, 5, v3
	v_and_b32_e32 v75, 0xfffffe00, v5
	v_ashrrev_i32_e32 v5, 9, v5
	s_delay_alu instid0(VALU_DEP_2) | instskip(NEXT) | instid1(VALU_DEP_1)
	v_dual_sub_nc_u32 v76, v2, v113 :: v_dual_sub_nc_u32 v77, v4, v75
	v_lshlrev_b32_e32 v2, 4, v76
	s_delay_alu instid0(VALU_DEP_2) | instskip(NEXT) | instid1(VALU_DEP_2)
	v_cmp_lt_i32_e64 s13, 15, v77
	v_lshl_add_u32 v2, v3, 9, v2
	s_delay_alu instid0(VALU_DEP_2) | instskip(NEXT) | instid1(VALU_DEP_1)
	v_add_co_ci_u32_e64 v5, null, 0, v5, s13
	v_dual_sub_nc_u32 v113, v4, v2 :: v_dual_sub_nc_u32 v78, v5, v3
	s_delay_alu instid0(VALU_DEP_1)
	v_cmpx_lt_i32_e32 15, v113
	s_cbranch_execz .LBB10_636
; %bb.631:                              ;   in Loop: Header=BB10_545 Depth=3
	v_add_nc_u32_e32 v2, v2, v74
	s_mov_b32 s45, 0
	s_delay_alu instid0(VALU_DEP_1) | instskip(NEXT) | instid1(VALU_DEP_1)
	v_ashrrev_i32_e32 v3, 31, v2
	v_add_nc_u64_e32 v[44:45], v[2:3], v[118:119]
	v_add_nc_u64_e32 v[46:47], v[2:3], v[40:41]
	;; [unrolled: 1-line block ×3, first 2 shown]
.LBB10_632:                             ;   Parent Loop BB10_73 Depth=1
                                        ;     Parent Loop BB10_542 Depth=2
                                        ;       Parent Loop BB10_545 Depth=3
                                        ; =>      This Loop Header: Depth=4
                                        ;           Child Loop BB10_633 Depth 5
	global_load_b128 v[2:5], v[44:45], off th:TH_LOAD_NT
	s_mov_b64 s[16:17], 0
	s_mov_b32 s46, -1
.LBB10_633:                             ;   Parent Loop BB10_73 Depth=1
                                        ;     Parent Loop BB10_542 Depth=2
                                        ;       Parent Loop BB10_545 Depth=3
                                        ;         Parent Loop BB10_632 Depth=4
                                        ; =>        This Inner Loop Header: Depth=5
	s_cmp_eq_u32 s16, 1
	s_cselect_b32 vcc_lo, -1, 0
	s_cmp_eq_u32 s16, 0
	s_wait_xcnt 0x0
	v_dual_cndmask_b32 v89, v47, v57 :: v_dual_cndmask_b32 v88, v46, v56
	s_cselect_b32 s14, -1, 0
	s_and_b32 s15, exec_lo, s46
	s_mov_b64 s[16:17], 1
	s_mov_b32 s46, 0
	v_add_nc_u64_e32 v[90:91], 0x200, v[88:89]
	s_wait_loadcnt 0x0
	global_store_b128 v[88:89], v[2:5], off th:TH_STORE_NT
	v_dual_cndmask_b32 v57, v57, v91 :: v_dual_cndmask_b32 v56, v56, v90
	v_dual_cndmask_b32 v47, v47, v91, s14 :: v_dual_cndmask_b32 v46, v46, v90, s14
	s_mov_b32 vcc_lo, s15
	s_cbranch_vccnz .LBB10_633
; %bb.634:                              ;   in Loop: Header=BB10_632 Depth=4
	v_dual_sub_nc_u32 v113, v113, v68 :: v_dual_sub_nc_u32 v78, v78, v50
	s_delay_alu instid0(VALU_DEP_2)
	v_add_nc_u64_e32 v[46:47], v[46:47], v[82:83]
	v_add_nc_u64_e32 v[56:57], v[56:57], v[82:83]
	s_wait_xcnt 0x1
	v_add_nc_u64_e32 v[44:45], v[96:97], v[44:45]
	v_cmp_gt_i32_e32 vcc_lo, 16, v113
	s_or_b32 s45, vcc_lo, s45
	s_wait_xcnt 0x0
	s_and_not1_b32 exec_lo, exec_lo, s45
	s_cbranch_execnz .LBB10_632
; %bb.635:                              ;   in Loop: Header=BB10_545 Depth=3
	s_or_b32 exec_lo, exec_lo, s45
.LBB10_636:                             ;   in Loop: Header=BB10_545 Depth=3
	s_delay_alu instid0(SALU_CYCLE_1) | instskip(SKIP_3) | instid1(VALU_DEP_1)
	s_or_b32 exec_lo, exec_lo, s44
	v_dual_mov_b32 v113, 0 :: v_dual_bitop2_b32 v3, 15, v48 bitop3:0x40
	s_mov_b32 s14, 0
	s_mov_b32 s15, exec_lo
                                        ; implicit-def: $vgpr44
                                        ; implicit-def: $vgpr2
	v_cndmask_b32_e64 v115, v77, v3, s13
	s_delay_alu instid0(VALU_DEP_1)
	v_cmpx_ne_u32_e32 0, v115
	s_cbranch_execz .LBB10_638
; %bb.637:                              ;   in Loop: Header=BB10_545 Depth=3
	v_cmp_lt_i32_e32 vcc_lo, 0, v78
	s_mov_b32 s14, exec_lo
	v_dual_cndmask_b32 v2, 0, v50 :: v_dual_sub_nc_u32 v3, v77, v3
	s_delay_alu instid0(VALU_DEP_1) | instskip(NEXT) | instid1(VALU_DEP_1)
	v_dual_cndmask_b32 v3, 0, v3, s13 :: v_dual_sub_nc_u32 v2, v2, v78
	v_add3_u32 v113, v75, v74, v3
	s_delay_alu instid0(VALU_DEP_2) | instskip(NEXT) | instid1(VALU_DEP_1)
	v_lshl_add_u32 v44, v2, 5, v76
	v_ashrrev_i32_e32 v2, 31, v44
	s_delay_alu instid0(VALU_DEP_1) | instskip(NEXT) | instid1(VALU_DEP_1)
	v_lshrrev_b32_e32 v2, 27, v2
	v_add_nc_u32_e32 v2, v44, v2
	s_delay_alu instid0(VALU_DEP_1)
	v_ashrrev_i32_e32 v2, 5, v2
.LBB10_638:                             ;   in Loop: Header=BB10_545 Depth=3
	s_or_b32 exec_lo, exec_lo, s15
	s_delay_alu instid0(SALU_CYCLE_1)
	s_and_b32 s13, s14, exec_lo
.LBB10_639:                             ;   in Loop: Header=BB10_545 Depth=3
	s_or_b32 exec_lo, exec_lo, s43
	s_and_saveexec_b32 s15, s13
	s_cbranch_execz .LBB10_650
.LBB10_640:                             ;   in Loop: Header=BB10_545 Depth=3
	v_ashrrev_i32_e32 v3, 31, v115
	s_mov_b32 s13, exec_lo
	s_delay_alu instid0(VALU_DEP_1) | instskip(NEXT) | instid1(VALU_DEP_1)
	v_lshrrev_b32_e32 v3, 23, v3
	v_add_nc_u32_e32 v3, v115, v3
	s_delay_alu instid0(VALU_DEP_1) | instskip(NEXT) | instid1(VALU_DEP_1)
	v_dual_ashrrev_i32 v47, 9, v3 :: v_dual_ashrrev_i32 v3, 31, v44
	v_dual_sub_nc_u32 v45, v47, v2 :: v_dual_lshrrev_b32 v46, 27, v3
	s_delay_alu instid0(VALU_DEP_1)
	v_cmpx_lt_i32_e32 0, v45
	s_cbranch_execz .LBB10_644
; %bb.641:                              ;   in Loop: Header=BB10_545 Depth=3
	s_delay_alu instid0(VALU_DEP_2) | instskip(SKIP_2) | instid1(VALU_DEP_2)
	v_add_nc_u32_e32 v3, v44, v46
	v_add_nc_u64_e32 v[74:75], 0x1e0, v[118:119]
	s_mov_b32 s14, 0
	v_and_b32_e32 v3, 0xffffffe0, v3
	s_delay_alu instid0(VALU_DEP_1) | instskip(NEXT) | instid1(VALU_DEP_1)
	v_dual_lshlrev_b32 v2, 9, v2 :: v_dual_sub_nc_u32 v3, v44, v3
	v_add3_u32 v56, v113, v3, v2
	s_delay_alu instid0(VALU_DEP_1) | instskip(NEXT) | instid1(VALU_DEP_1)
	v_ashrrev_i32_e32 v57, 31, v56
	v_add_nc_u64_e32 v[2:3], v[56:57], v[40:41]
	v_add_nc_u64_e32 v[4:5], v[56:57], v[42:43]
	;; [unrolled: 1-line block ×3, first 2 shown]
.LBB10_642:                             ;   Parent Loop BB10_73 Depth=1
                                        ;     Parent Loop BB10_542 Depth=2
                                        ;       Parent Loop BB10_545 Depth=3
                                        ; =>      This Inner Loop Header: Depth=4
	s_clause 0xf
	flat_load_u8 v56, v[42:43] offset:-480 th:TH_LOAD_NT
	flat_load_u8 v57, v[42:43] offset:-448 th:TH_LOAD_NT
	;; [unrolled: 1-line block ×15, first 2 shown]
	flat_load_u8 v95, v[42:43] th:TH_LOAD_NT
	v_sub_nc_u32_e32 v45, v45, v50
	s_wait_xcnt 0x0
	v_add_nc_u64_e32 v[42:43], v[42:43], v[96:97]
	s_wait_loadcnt_dscnt 0xf0f
	flat_store_b8 v[2:3], v56 th:TH_STORE_NT
	s_wait_loadcnt_dscnt 0xe0f
	flat_store_b8 v[2:3], v57 offset:32 th:TH_STORE_NT
	s_wait_loadcnt_dscnt 0xd0f
	flat_store_b8 v[2:3], v74 offset:64 th:TH_STORE_NT
	;; [unrolled: 2-line block ×15, first 2 shown]
	s_clause 0xf
	flat_store_b8 v[4:5], v56 th:TH_STORE_NT
	flat_store_b8 v[4:5], v57 offset:32 th:TH_STORE_NT
	flat_store_b8 v[4:5], v74 offset:64 th:TH_STORE_NT
	;; [unrolled: 1-line block ×15, first 2 shown]
	v_cmp_gt_i32_e32 vcc_lo, 1, v45
	s_wait_xcnt 0x10
	v_add_nc_u64_e32 v[2:3], v[2:3], v[68:69]
	s_wait_xcnt 0x0
	v_add_nc_u64_e32 v[4:5], v[4:5], v[68:69]
	s_or_b32 s14, vcc_lo, s14
	s_delay_alu instid0(SALU_CYCLE_1)
	s_and_not1_b32 exec_lo, exec_lo, s14
	s_cbranch_execnz .LBB10_642
; %bb.643:                              ;   in Loop: Header=BB10_545 Depth=3
	s_or_b32 exec_lo, exec_lo, s14
.LBB10_644:                             ;   in Loop: Header=BB10_545 Depth=3
	s_delay_alu instid0(SALU_CYCLE_1) | instskip(SKIP_1) | instid1(VALU_DEP_1)
	s_or_b32 exec_lo, exec_lo, s13
	v_lshlrev_b32_e32 v2, 9, v47
	v_cmp_ne_u32_e32 vcc_lo, v115, v2
	s_and_b32 exec_lo, exec_lo, vcc_lo
	s_cbranch_execz .LBB10_650
; %bb.645:                              ;   in Loop: Header=BB10_545 Depth=3
	v_dual_add_nc_u32 v3, v44, v46 :: v_dual_lshlrev_b32 v4, 5, v45
	s_delay_alu instid0(VALU_DEP_1) | instskip(NEXT) | instid1(VALU_DEP_1)
	v_and_b32_e32 v3, 0xffffffe0, v3
	v_sub_nc_u32_e32 v3, v44, v3
	s_delay_alu instid0(VALU_DEP_1) | instskip(NEXT) | instid1(VALU_DEP_1)
	v_sub_nc_u32_e32 v3, v3, v4
	v_add_nc_u32_e32 v2, v2, v3
	s_delay_alu instid0(VALU_DEP_1) | instskip(NEXT) | instid1(VALU_DEP_1)
	v_sub_nc_u32_e32 v115, v115, v2
	v_cmp_lt_i32_e32 vcc_lo, 0, v115
	s_and_b32 exec_lo, exec_lo, vcc_lo
	s_cbranch_execz .LBB10_650
; %bb.646:                              ;   in Loop: Header=BB10_545 Depth=3
	s_trap 2
	ds_load_b64 v[4:5], v0
	ds_load_b128 v[42:45], v0
	v_add_nc_u32_e32 v46, v2, v113
	s_mov_b32 s43, 0
	s_delay_alu instid0(VALU_DEP_1) | instskip(SKIP_1) | instid1(VALU_DEP_1)
	v_ashrrev_i32_e32 v47, 31, v46
	s_wait_dscnt 0x1
	v_add_nc_u64_e32 v[2:3], v[4:5], v[46:47]
	s_wait_dscnt 0x0
	v_add_nc_u64_e32 v[4:5], v[42:43], v[46:47]
	v_add_nc_u64_e32 v[42:43], v[44:45], v[46:47]
.LBB10_647:                             ;   Parent Loop BB10_73 Depth=1
                                        ;     Parent Loop BB10_542 Depth=2
                                        ;       Parent Loop BB10_545 Depth=3
                                        ; =>      This Loop Header: Depth=4
                                        ;           Child Loop BB10_648 Depth 5
	flat_load_u8 v113, v[2:3] th:TH_LOAD_NT
	s_mov_b64 s[16:17], 0
	s_mov_b32 s44, -1
.LBB10_648:                             ;   Parent Loop BB10_73 Depth=1
                                        ;     Parent Loop BB10_542 Depth=2
                                        ;       Parent Loop BB10_545 Depth=3
                                        ;         Parent Loop BB10_647 Depth=4
                                        ; =>        This Inner Loop Header: Depth=5
	s_cmp_eq_u32 s16, 1
	s_cselect_b32 vcc_lo, -1, 0
	s_cmp_eq_u32 s16, 0
	s_wait_xcnt 0x0
	v_dual_cndmask_b32 v45, v5, v43 :: v_dual_cndmask_b32 v44, v4, v42
	s_cselect_b32 s13, -1, 0
	s_and_b32 s14, exec_lo, s44
	s_mov_b64 s[16:17], 1
	s_mov_b32 s44, 0
	v_add_nc_u64_e32 v[46:47], 32, v[44:45]
	s_wait_loadcnt_dscnt 0x0
	flat_store_b8 v[44:45], v113 th:TH_STORE_NT
	v_dual_cndmask_b32 v43, v43, v47 :: v_dual_cndmask_b32 v42, v42, v46
	v_dual_cndmask_b32 v5, v5, v47, s13 :: v_dual_cndmask_b32 v4, v4, v46, s13
	s_mov_b32 vcc_lo, s14
	s_cbranch_vccnz .LBB10_648
; %bb.649:                              ;   in Loop: Header=BB10_647 Depth=4
	v_sub_nc_u32_e32 v115, v115, v59
	s_delay_alu instid0(VALU_DEP_2)
	v_add_nc_u64_e32 v[4:5], v[4:5], v[70:71]
	v_add_nc_u64_e32 v[42:43], v[42:43], v[70:71]
	s_wait_xcnt 0x1
	v_add_nc_u64_e32 v[2:3], v[86:87], v[2:3]
	v_cmp_gt_i32_e32 vcc_lo, 1, v115
	s_or_b32 s43, vcc_lo, s43
	s_wait_xcnt 0x0
	s_and_not1_b32 exec_lo, exec_lo, s43
	s_cbranch_execnz .LBB10_647
.LBB10_650:                             ;   in Loop: Header=BB10_545 Depth=3
	s_or_b32 exec_lo, exec_lo, s15
	s_mov_b32 s13, 0
.LBB10_651:                             ;   in Loop: Header=BB10_545 Depth=3
	s_delay_alu instid0(SALU_CYCLE_1)
	s_and_b32 vcc_lo, exec_lo, s13
	s_cbranch_vccz .LBB10_680
; %bb.652:                              ;   in Loop: Header=BB10_545 Depth=3
	s_mov_b32 s13, -1
	s_and_saveexec_b32 s14, s11
	s_cbranch_execz .LBB10_654
; %bb.653:                              ;   in Loop: Header=BB10_545 Depth=3
	ds_load_b32 v2, v0 offset:720
	s_wait_dscnt 0x0
	v_and_b32_e32 v2, 15, v2
	s_delay_alu instid0(VALU_DEP_1)
	v_cmp_eq_u32_e32 vcc_lo, 0, v2
	s_or_not1_b32 s13, vcc_lo, exec_lo
.LBB10_654:                             ;   in Loop: Header=BB10_545 Depth=3
	s_or_b32 exec_lo, exec_lo, s14
	s_and_saveexec_b32 s14, s6
	s_cbranch_execz .LBB10_656
; %bb.655:                              ;   in Loop: Header=BB10_545 Depth=3
	ds_load_b32 v2, v0 offset:784
	s_wait_dscnt 0x0
	v_and_b32_e32 v2, 15, v2
	s_delay_alu instid0(VALU_DEP_1) | instskip(SKIP_3) | instid1(SALU_CYCLE_1)
	v_cmp_eq_u32_e32 vcc_lo, 0, v2
	s_and_b32 s15, s13, vcc_lo
	s_and_not1_b32 s13, s13, exec_lo
	s_and_b32 s15, s15, exec_lo
	s_or_b32 s13, s13, s15
.LBB10_656:                             ;   in Loop: Header=BB10_545 Depth=3
	s_or_b32 exec_lo, exec_lo, s14
	s_xor_b32 s13, s13, -1
	v_dual_mov_b32 v4, 0 :: v_dual_mov_b32 v5, v48
	v_cndmask_b32_e64 v2, 0, 1, s13
	v_mov_b32_e32 v113, v0
	s_mov_b32 s15, -1
	s_delay_alu instid0(VALU_DEP_2)
	v_cmp_ne_u32_e32 vcc_lo, 0, v2
	v_mov_b32_e32 v2, v62
	s_cbranch_vccz .LBB10_658
; %bb.657:                              ;   in Loop: Header=BB10_545 Depth=3
	s_and_saveexec_b32 s13, s15
	s_cbranch_execnz .LBB10_671
	s_branch .LBB10_679
.LBB10_658:                             ;   in Loop: Header=BB10_545 Depth=3
	v_ashrrev_i32_e32 v2, 31, v48
	s_mov_b32 s13, exec_lo
	s_delay_alu instid0(VALU_DEP_1) | instskip(NEXT) | instid1(VALU_DEP_1)
	v_lshrrev_b32_e32 v2, 21, v2
	v_add_nc_u32_e32 v2, v48, v2
	s_delay_alu instid0(VALU_DEP_1) | instskip(NEXT) | instid1(VALU_DEP_1)
	v_ashrrev_i32_e32 v113, 11, v2
	v_sub_nc_u32_e32 v42, v113, v62
	s_delay_alu instid0(VALU_DEP_1)
	v_cmpx_lt_i32_e32 0, v42
	s_cbranch_execz .LBB10_662
; %bb.659:                              ;   in Loop: Header=BB10_545 Depth=3
	v_mov_b64_e32 v[2:3], v[40:41]
	v_mov_b64_e32 v[4:5], v[118:119]
	s_mov_b32 s14, 0
.LBB10_660:                             ;   Parent Loop BB10_73 Depth=1
                                        ;     Parent Loop BB10_542 Depth=2
                                        ;       Parent Loop BB10_545 Depth=3
                                        ; =>      This Inner Loop Header: Depth=4
	s_delay_alu instid0(VALU_DEP_1)
	v_add_nc_u64_e32 v[56:57], v[98:99], v[4:5]
	v_sub_nc_u32_e32 v42, v42, v50
	v_add_nc_u64_e32 v[4:5], v[4:5], v[80:81]
	s_clause 0x3
	global_load_b128 v[44:47], v[56:57], off th:TH_LOAD_NT
	global_load_b128 v[74:77], v[56:57], off offset:512 th:TH_LOAD_NT
	global_load_b128 v[88:91], v[56:57], off offset:1024 th:TH_LOAD_NT
	;; [unrolled: 1-line block ×3, first 2 shown]
	s_wait_xcnt 0x0
	v_add_nc_u64_e32 v[56:57], v[98:99], v[2:3]
	v_cmp_gt_i32_e32 vcc_lo, 1, v42
	v_add_nc_u64_e32 v[2:3], v[2:3], v[80:81]
	s_wait_loadcnt 0x3
	global_store_b128 v[56:57], v[44:47], off th:TH_STORE_NT
	s_wait_loadcnt 0x2
	global_store_b128 v[56:57], v[74:77], off offset:512 th:TH_STORE_NT
	s_wait_loadcnt 0x1
	global_store_b128 v[56:57], v[88:91], off offset:1024 th:TH_STORE_NT
	;; [unrolled: 2-line block ×3, first 2 shown]
	s_or_b32 s14, vcc_lo, s14
	s_wait_xcnt 0x0
	s_and_not1_b32 exec_lo, exec_lo, s14
	s_cbranch_execnz .LBB10_660
; %bb.661:                              ;   in Loop: Header=BB10_545 Depth=3
	s_or_b32 exec_lo, exec_lo, s14
.LBB10_662:                             ;   in Loop: Header=BB10_545 Depth=3
	s_delay_alu instid0(SALU_CYCLE_1) | instskip(SKIP_3) | instid1(VALU_DEP_1)
	s_or_b32 exec_lo, exec_lo, s13
	v_dual_mov_b32 v4, 0 :: v_dual_lshlrev_b32 v115, 11, v113
	s_mov_b32 s15, 0
	s_mov_b32 s14, exec_lo
                                        ; implicit-def: $vgpr5
                                        ; implicit-def: $vgpr113
                                        ; implicit-def: $vgpr2
	v_cmpx_ne_u32_e64 v48, v115
	s_cbranch_execz .LBB10_670
; %bb.663:                              ;   in Loop: Header=BB10_545 Depth=3
	v_dual_lshlrev_b32 v2, 5, v42 :: v_dual_sub_nc_u32 v4, v48, v115
	s_mov_b32 s15, exec_lo
	s_delay_alu instid0(VALU_DEP_1) | instskip(NEXT) | instid1(VALU_DEP_1)
	v_dual_sub_nc_u32 v2, v63, v2 :: v_dual_ashrrev_i32 v5, 31, v4
	v_dual_ashrrev_i32 v3, 31, v2 :: v_dual_lshrrev_b32 v5, 23, v5
	s_delay_alu instid0(VALU_DEP_1) | instskip(NEXT) | instid1(VALU_DEP_1)
	v_lshrrev_b32_e32 v3, 27, v3
	v_dual_add_nc_u32 v3, v2, v3 :: v_dual_add_nc_u32 v5, v4, v5
	s_delay_alu instid0(VALU_DEP_1) | instskip(SKIP_1) | instid1(VALU_DEP_3)
	v_and_b32_e32 v113, 0xffffffe0, v3
	v_ashrrev_i32_e32 v3, 5, v3
	v_and_b32_e32 v42, 0xfffffe00, v5
	v_ashrrev_i32_e32 v5, 9, v5
	s_delay_alu instid0(VALU_DEP_2) | instskip(NEXT) | instid1(VALU_DEP_1)
	v_dual_sub_nc_u32 v43, v2, v113 :: v_dual_sub_nc_u32 v44, v4, v42
	v_lshlrev_b32_e32 v2, 4, v43
	s_delay_alu instid0(VALU_DEP_2) | instskip(NEXT) | instid1(VALU_DEP_2)
	v_cmp_lt_i32_e32 vcc_lo, 15, v44
	v_lshl_add_u32 v2, v3, 9, v2
	v_add_co_ci_u32_e64 v5, null, 0, v5, vcc_lo
	s_delay_alu instid0(VALU_DEP_1) | instskip(NEXT) | instid1(VALU_DEP_1)
	v_dual_sub_nc_u32 v4, v4, v2 :: v_dual_sub_nc_u32 v45, v5, v3
	v_cmpx_lt_i32_e32 15, v4
	s_cbranch_execz .LBB10_667
; %bb.664:                              ;   in Loop: Header=BB10_545 Depth=3
	v_add_nc_u32_e32 v2, v2, v115
	s_mov_b32 s16, 0
	s_delay_alu instid0(VALU_DEP_1)
	v_ashrrev_i32_e32 v3, 31, v2
.LBB10_665:                             ;   Parent Loop BB10_73 Depth=1
                                        ;     Parent Loop BB10_542 Depth=2
                                        ;       Parent Loop BB10_545 Depth=3
                                        ; =>      This Inner Loop Header: Depth=4
	s_delay_alu instid0(VALU_DEP_1) | instskip(SKIP_1) | instid1(VALU_DEP_1)
	v_add_nc_u64_e32 v[46:47], v[118:119], v[2:3]
	v_dual_sub_nc_u32 v4, v4, v68 :: v_dual_sub_nc_u32 v45, v45, v50
	v_cmp_gt_i32_e64 s13, 16, v4
	global_load_b128 v[74:77], v[46:47], off th:TH_LOAD_NT
	s_wait_xcnt 0x0
	v_add_nc_u64_e32 v[46:47], v[40:41], v[2:3]
	v_add_nc_u64_e32 v[2:3], v[2:3], v[96:97]
	s_or_b32 s16, s13, s16
	s_wait_loadcnt 0x0
	global_store_b128 v[46:47], v[74:77], off th:TH_STORE_NT
	s_wait_xcnt 0x0
	s_and_not1_b32 exec_lo, exec_lo, s16
	s_cbranch_execnz .LBB10_665
; %bb.666:                              ;   in Loop: Header=BB10_545 Depth=3
	s_or_b32 exec_lo, exec_lo, s16
.LBB10_667:                             ;   in Loop: Header=BB10_545 Depth=3
	s_delay_alu instid0(SALU_CYCLE_1) | instskip(SKIP_3) | instid1(VALU_DEP_1)
	s_or_b32 exec_lo, exec_lo, s15
	v_dual_mov_b32 v4, 0 :: v_dual_bitop2_b32 v3, 15, v48 bitop3:0x40
	s_mov_b32 s15, 0
	s_mov_b32 s16, exec_lo
                                        ; implicit-def: $vgpr113
                                        ; implicit-def: $vgpr2
	v_cndmask_b32_e32 v5, v44, v3, vcc_lo
	s_delay_alu instid0(VALU_DEP_1)
	v_cmpx_ne_u32_e32 0, v5
	s_cbranch_execz .LBB10_669
; %bb.668:                              ;   in Loop: Header=BB10_545 Depth=3
	v_cmp_lt_i32_e64 s13, 0, v45
	s_mov_b32 s15, exec_lo
	v_dual_sub_nc_u32 v3, v44, v3 :: v_dual_cndmask_b32 v2, 0, v50, s13
	s_delay_alu instid0(VALU_DEP_1) | instskip(NEXT) | instid1(VALU_DEP_1)
	v_dual_cndmask_b32 v3, 0, v3 :: v_dual_sub_nc_u32 v2, v2, v45
	v_add3_u32 v4, v42, v115, v3
	s_delay_alu instid0(VALU_DEP_2) | instskip(NEXT) | instid1(VALU_DEP_1)
	v_lshl_add_u32 v113, v2, 5, v43
	v_ashrrev_i32_e32 v2, 31, v113
	s_delay_alu instid0(VALU_DEP_1) | instskip(NEXT) | instid1(VALU_DEP_1)
	v_lshrrev_b32_e32 v2, 27, v2
	v_add_nc_u32_e32 v2, v113, v2
	s_delay_alu instid0(VALU_DEP_1)
	v_ashrrev_i32_e32 v2, 5, v2
.LBB10_669:                             ;   in Loop: Header=BB10_545 Depth=3
	s_or_b32 exec_lo, exec_lo, s16
	s_delay_alu instid0(SALU_CYCLE_1)
	s_and_b32 s15, s15, exec_lo
.LBB10_670:                             ;   in Loop: Header=BB10_545 Depth=3
	s_or_b32 exec_lo, exec_lo, s14
	s_and_saveexec_b32 s13, s15
	s_cbranch_execz .LBB10_679
.LBB10_671:                             ;   in Loop: Header=BB10_545 Depth=3
	v_ashrrev_i32_e32 v3, 31, v5
	s_mov_b32 s14, exec_lo
	s_delay_alu instid0(VALU_DEP_1) | instskip(NEXT) | instid1(VALU_DEP_1)
	v_lshrrev_b32_e32 v3, 23, v3
	v_add_nc_u32_e32 v3, v5, v3
	s_delay_alu instid0(VALU_DEP_1) | instskip(NEXT) | instid1(VALU_DEP_1)
	v_ashrrev_i32_e32 v42, 9, v3
	v_sub_nc_u32_e32 v115, v42, v2
	s_delay_alu instid0(VALU_DEP_1)
	v_cmpx_lt_i32_e32 0, v115
	s_cbranch_execz .LBB10_675
; %bb.672:                              ;   in Loop: Header=BB10_545 Depth=3
	v_dual_ashrrev_i32 v3, 31, v113 :: v_dual_lshlrev_b32 v2, 9, v2
	s_mov_b32 s15, 0
	s_delay_alu instid0(VALU_DEP_1) | instskip(NEXT) | instid1(VALU_DEP_1)
	v_lshrrev_b32_e32 v3, 27, v3
	v_add_nc_u32_e32 v3, v113, v3
	s_delay_alu instid0(VALU_DEP_1) | instskip(NEXT) | instid1(VALU_DEP_1)
	v_and_b32_e32 v3, 0xffffffe0, v3
	v_sub_nc_u32_e32 v3, v113, v3
	s_delay_alu instid0(VALU_DEP_1) | instskip(NEXT) | instid1(VALU_DEP_1)
	v_add3_u32 v2, v4, v3, v2
	v_ashrrev_i32_e32 v3, 31, v2
.LBB10_673:                             ;   Parent Loop BB10_73 Depth=1
                                        ;     Parent Loop BB10_542 Depth=2
                                        ;       Parent Loop BB10_545 Depth=3
                                        ; =>      This Inner Loop Header: Depth=4
	s_delay_alu instid0(VALU_DEP_1)
	v_add_nc_u64_e32 v[44:45], v[2:3], v[118:119]
	v_sub_nc_u32_e32 v115, v115, v50
	v_add_nc_u64_e32 v[118:119], v[118:119], v[96:97]
	s_clause 0xf
	flat_load_u8 v43, v[44:45] th:TH_LOAD_NT
	flat_load_u8 v46, v[44:45] offset:32 th:TH_LOAD_NT
	flat_load_u8 v47, v[44:45] offset:64 th:TH_LOAD_NT
	;; [unrolled: 1-line block ×15, first 2 shown]
	s_wait_xcnt 0x0
	v_add_nc_u64_e32 v[44:45], v[2:3], v[40:41]
	v_add_nc_u64_e32 v[40:41], v[40:41], v[96:97]
	v_cmp_gt_i32_e32 vcc_lo, 1, v115
	s_wait_loadcnt_dscnt 0xf0f
	flat_store_b8 v[44:45], v43 th:TH_STORE_NT
	s_wait_loadcnt_dscnt 0xe0f
	flat_store_b8 v[44:45], v46 offset:32 th:TH_STORE_NT
	s_wait_loadcnt_dscnt 0xd0f
	flat_store_b8 v[44:45], v47 offset:64 th:TH_STORE_NT
	;; [unrolled: 2-line block ×15, first 2 shown]
	s_or_b32 s15, vcc_lo, s15
	s_wait_xcnt 0x0
	s_and_not1_b32 exec_lo, exec_lo, s15
	s_cbranch_execnz .LBB10_673
; %bb.674:                              ;   in Loop: Header=BB10_545 Depth=3
	s_or_b32 exec_lo, exec_lo, s15
.LBB10_675:                             ;   in Loop: Header=BB10_545 Depth=3
	s_delay_alu instid0(SALU_CYCLE_1) | instskip(SKIP_1) | instid1(VALU_DEP_1)
	s_or_b32 exec_lo, exec_lo, s14
	v_lshlrev_b32_e32 v2, 9, v42
	v_cmp_ne_u32_e32 vcc_lo, v5, v2
	s_and_b32 exec_lo, exec_lo, vcc_lo
	s_cbranch_execz .LBB10_679
; %bb.676:                              ;   in Loop: Header=BB10_545 Depth=3
	v_ashrrev_i32_e32 v3, 31, v113
	s_delay_alu instid0(VALU_DEP_1) | instskip(NEXT) | instid1(VALU_DEP_1)
	v_lshrrev_b32_e32 v3, 27, v3
	v_add_nc_u32_e32 v3, v113, v3
	s_delay_alu instid0(VALU_DEP_1) | instskip(NEXT) | instid1(VALU_DEP_1)
	v_and_b32_e32 v3, 0xffffffe0, v3
	v_sub_nc_u32_e32 v3, v113, v3
	v_lshlrev_b32_e32 v113, 5, v115
	s_delay_alu instid0(VALU_DEP_1) | instskip(NEXT) | instid1(VALU_DEP_1)
	v_sub_nc_u32_e32 v3, v3, v113
	v_add_nc_u32_e32 v115, v2, v3
	s_delay_alu instid0(VALU_DEP_1) | instskip(NEXT) | instid1(VALU_DEP_1)
	v_sub_nc_u32_e32 v113, v5, v115
	v_cmp_lt_i32_e32 vcc_lo, 0, v113
	s_and_b32 exec_lo, exec_lo, vcc_lo
	s_cbranch_execz .LBB10_679
; %bb.677:                              ;   in Loop: Header=BB10_545 Depth=3
	s_trap 2
	ds_load_b64 v[2:3], v0
	v_add_nc_u32_e32 v4, v115, v4
	s_mov_b32 s14, 0
	s_delay_alu instid0(VALU_DEP_1)
	v_ashrrev_i32_e32 v5, 31, v4
.LBB10_678:                             ;   Parent Loop BB10_73 Depth=1
                                        ;     Parent Loop BB10_542 Depth=2
                                        ;       Parent Loop BB10_545 Depth=3
                                        ; =>      This Inner Loop Header: Depth=4
	s_wait_dscnt 0x0
	s_delay_alu instid0(VALU_DEP_1) | instskip(SKIP_2) | instid1(VALU_DEP_2)
	v_add_nc_u64_e32 v[118:119], v[2:3], v[4:5]
	v_sub_nc_u32_e32 v113, v113, v59
	v_add_nc_u64_e32 v[4:5], v[4:5], v[86:87]
	v_cmp_gt_i32_e32 vcc_lo, 1, v113
	flat_load_u8 v115, v[118:119] th:TH_LOAD_NT
	s_or_b32 s14, vcc_lo, s14
	s_wait_loadcnt_dscnt 0x0
	flat_store_b8 v[118:119], v115 th:TH_STORE_NT
	s_wait_xcnt 0x0
	s_and_not1_b32 exec_lo, exec_lo, s14
	s_cbranch_execnz .LBB10_678
.LBB10_679:                             ;   in Loop: Header=BB10_545 Depth=3
	s_or_b32 exec_lo, exec_lo, s13
.LBB10_680:                             ;   in Loop: Header=BB10_545 Depth=3
	v_cmp_lt_i32_e64 s13, 0, v48
	s_and_saveexec_b32 s14, s1
	s_cbranch_execz .LBB10_621
.LBB10_681:                             ;   in Loop: Header=BB10_545 Depth=3
	s_and_saveexec_b32 s15, s2
	s_delay_alu instid0(SALU_CYCLE_1)
	s_xor_b32 s15, exec_lo, s15
	s_cbranch_execz .LBB10_696
; %bb.682:                              ;   in Loop: Header=BB10_545 Depth=3
	s_and_saveexec_b32 s16, s5
	s_cbranch_execz .LBB10_695
; %bb.683:                              ;   in Loop: Header=BB10_545 Depth=3
	s_mov_b32 s43, exec_lo
	s_mov_b32 s17, exec_lo
	v_mbcnt_lo_u32_b32 v2, s43, 0
	global_wb scope:SCOPE_DEV
	s_wait_storecnt 0x0
	s_wait_loadcnt_dscnt 0x0
	global_inv scope:SCOPE_DEV
	v_cmpx_eq_u32_e32 0, v2
	s_cbranch_execz .LBB10_685
; %bb.684:                              ;   in Loop: Header=BB10_545 Depth=3
	s_bcnt1_i32_b32 s43, s43
	s_delay_alu instid0(SALU_CYCLE_1)
	v_mov_b32_e32 v48, s43
	s_wait_loadcnt 0x0
	ds_add_u64 v0, v[48:49]
	s_trap 2
.LBB10_685:                             ;   in Loop: Header=BB10_545 Depth=3
	s_or_b32 exec_lo, exec_lo, s17
	s_trap 2
	ds_load_b64 v[2:3], v0
	s_wait_dscnt 0x0
	v_add_nc_u64_e32 v[14:15], v[14:15], v[50:51]
	s_mov_b32 s17, exec_lo
	s_delay_alu instid0(VALU_DEP_1)
	v_cmpx_lt_u64_e64 v[2:3], v[14:15]
	s_cbranch_execz .LBB10_694
; %bb.686:                              ;   in Loop: Header=BB10_545 Depth=3
	s_mov_b32 s43, 0
	s_mov_b32 s46, 0
                                        ; implicit-def: $sgpr44
                                        ; implicit-def: $sgpr45
	s_branch .LBB10_688
.LBB10_687:                             ;   in Loop: Header=BB10_688 Depth=4
	s_or_b32 exec_lo, exec_lo, s56
	s_delay_alu instid0(SALU_CYCLE_1) | instskip(NEXT) | instid1(SALU_CYCLE_1)
	s_and_b32 s47, exec_lo, s57
	s_or_b32 s43, s47, s43
	s_and_not1_b32 s44, s44, exec_lo
	s_and_b32 s47, s45, exec_lo
	s_delay_alu instid0(SALU_CYCLE_1)
	s_or_b32 s44, s44, s47
	s_and_not1_b32 exec_lo, exec_lo, s43
	s_cbranch_execz .LBB10_692
.LBB10_688:                             ;   Parent Loop BB10_73 Depth=1
                                        ;     Parent Loop BB10_542 Depth=2
                                        ;       Parent Loop BB10_545 Depth=3
                                        ; =>      This Inner Loop Header: Depth=4
	s_add_co_i32 s46, s46, 1
	s_delay_alu instid0(SALU_CYCLE_1) | instskip(SKIP_1) | instid1(SALU_CYCLE_1)
	s_cmp_lg_u32 s46, 0x2710
	s_cselect_b32 s47, -1, 0
	s_and_b32 vcc_lo, exec_lo, s47
	s_cbranch_vccz .LBB10_690
; %bb.689:                              ;   in Loop: Header=BB10_688 Depth=4
	s_mov_b32 s57, -1
	s_or_b32 s45, s45, exec_lo
	s_and_saveexec_b32 s56, s47
	s_cbranch_execz .LBB10_687
	s_branch .LBB10_691
.LBB10_690:                             ;   in Loop: Header=BB10_688 Depth=4
	s_trap 2
	ds_load_b64 v[2:3], v0
	s_and_not1_b32 s47, s47, exec_lo
	s_mov_b32 s46, 0
	s_wait_loadcnt_dscnt 0x0
	flat_load_b32 v2, v[2:3] scope:SCOPE_SYS
	s_wait_loadcnt_dscnt 0x0
	global_inv scope:SCOPE_SYS
	v_cmp_eq_u32_e32 vcc_lo, 0, v2
	s_and_b32 s56, vcc_lo, exec_lo
	s_delay_alu instid0(SALU_CYCLE_1)
	s_or_b32 s47, s47, s56
	s_mov_b32 s57, -1
	s_or_b32 s45, s45, exec_lo
	s_and_saveexec_b32 s56, s47
	s_cbranch_execz .LBB10_687
.LBB10_691:                             ;   in Loop: Header=BB10_688 Depth=4
	s_sleep 1
	s_trap 2
	ds_load_b64 v[2:3], v0
	s_wait_dscnt 0x0
	s_and_not1_b32 s45, s45, exec_lo
	v_cmp_ge_u64_e32 vcc_lo, v[2:3], v[14:15]
	s_or_not1_b32 s57, vcc_lo, exec_lo
	s_branch .LBB10_687
.LBB10_692:                             ;   in Loop: Header=BB10_545 Depth=3
	s_or_b32 exec_lo, exec_lo, s43
	s_and_saveexec_b32 s43, s44
	s_delay_alu instid0(SALU_CYCLE_1)
	s_xor_b32 s43, exec_lo, s43
	s_cbranch_execz .LBB10_694
; %bb.693:                              ;   in Loop: Header=BB10_545 Depth=3
	ds_store_b32 v0, v60
	s_trap 2
.LBB10_694:                             ;   in Loop: Header=BB10_545 Depth=3
	s_or_b32 exec_lo, exec_lo, s17
	;;#ASMSTART
	s_wakeup
	;;#ASMEND
.LBB10_695:                             ;   in Loop: Header=BB10_545 Depth=3
	s_or_b32 exec_lo, exec_lo, s16
.LBB10_696:                             ;   in Loop: Header=BB10_545 Depth=3
	s_and_not1_saveexec_b32 s15, s15
	s_cbranch_execz .LBB10_698
; %bb.697:                              ;   in Loop: Header=BB10_545 Depth=3
	global_wb scope:SCOPE_DEV
	s_wait_storecnt 0x0
	s_wait_loadcnt_dscnt 0x0
	global_inv scope:SCOPE_DEV
	s_barrier_signal -1
	s_barrier_wait -1
.LBB10_698:                             ;   in Loop: Header=BB10_545 Depth=3
	s_or_b32 exec_lo, exec_lo, s15
	s_delay_alu instid0(SALU_CYCLE_1) | instskip(SKIP_1) | instid1(SALU_CYCLE_1)
	s_or_b32 exec_lo, exec_lo, s14
                                        ; implicit-def: $vgpr2
	s_and_saveexec_b32 s14, s10
	s_xor_b32 s14, exec_lo, s14
	s_cbranch_execnz .LBB10_622
.LBB10_699:                             ;   in Loop: Header=BB10_545 Depth=3
	s_and_not1_saveexec_b32 s13, s14
	s_cbranch_execz .LBB10_718
.LBB10_700:                             ;   in Loop: Header=BB10_545 Depth=3
	s_and_saveexec_b32 s14, s2
	s_delay_alu instid0(SALU_CYCLE_1)
	s_xor_b32 s14, exec_lo, s14
	s_cbranch_execz .LBB10_715
; %bb.701:                              ;   in Loop: Header=BB10_545 Depth=3
	s_and_saveexec_b32 s15, s5
	s_cbranch_execz .LBB10_714
; %bb.702:                              ;   in Loop: Header=BB10_545 Depth=3
	s_mov_b32 s17, exec_lo
	s_mov_b32 s16, exec_lo
	v_mbcnt_lo_u32_b32 v2, s17, 0
	;;#ASMSTART
	s_waitcnt lgkmcnt(0) vmcnt(0)
	;;#ASMEND
	s_delay_alu instid0(VALU_DEP_1)
	v_cmpx_eq_u32_e32 0, v2
	s_cbranch_execz .LBB10_704
; %bb.703:                              ;   in Loop: Header=BB10_545 Depth=3
	s_bcnt1_i32_b32 s17, s17
	s_delay_alu instid0(SALU_CYCLE_1)
	v_mov_b32_e32 v48, s17
	s_wait_storecnt 0x0
	s_wait_loadcnt_dscnt 0x0
	ds_add_u64 v0, v[48:49]
	s_trap 2
.LBB10_704:                             ;   in Loop: Header=BB10_545 Depth=3
	s_or_b32 exec_lo, exec_lo, s16
	s_trap 2
	ds_load_b64 v[2:3], v0
	s_wait_dscnt 0x0
	v_add_nc_u64_e32 v[14:15], v[14:15], v[50:51]
	s_mov_b32 s16, exec_lo
	s_delay_alu instid0(VALU_DEP_1)
	v_cmpx_lt_u64_e64 v[2:3], v[14:15]
	s_cbranch_execz .LBB10_713
; %bb.705:                              ;   in Loop: Header=BB10_545 Depth=3
	s_mov_b32 s17, 0
	s_mov_b32 s45, 0
                                        ; implicit-def: $sgpr43
                                        ; implicit-def: $sgpr44
	s_branch .LBB10_707
.LBB10_706:                             ;   in Loop: Header=BB10_707 Depth=4
	s_or_b32 exec_lo, exec_lo, s47
	s_delay_alu instid0(SALU_CYCLE_1) | instskip(NEXT) | instid1(SALU_CYCLE_1)
	s_and_b32 s46, exec_lo, s56
	s_or_b32 s17, s46, s17
	s_and_not1_b32 s43, s43, exec_lo
	s_and_b32 s46, s44, exec_lo
	s_delay_alu instid0(SALU_CYCLE_1)
	s_or_b32 s43, s43, s46
	s_and_not1_b32 exec_lo, exec_lo, s17
	s_cbranch_execz .LBB10_711
.LBB10_707:                             ;   Parent Loop BB10_73 Depth=1
                                        ;     Parent Loop BB10_542 Depth=2
                                        ;       Parent Loop BB10_545 Depth=3
                                        ; =>      This Inner Loop Header: Depth=4
	s_add_co_i32 s45, s45, 1
	s_delay_alu instid0(SALU_CYCLE_1) | instskip(SKIP_1) | instid1(SALU_CYCLE_1)
	s_cmp_lg_u32 s45, 0x2710
	s_cselect_b32 s46, -1, 0
	s_and_b32 vcc_lo, exec_lo, s46
	s_cbranch_vccz .LBB10_709
; %bb.708:                              ;   in Loop: Header=BB10_707 Depth=4
	s_mov_b32 s56, -1
	s_or_b32 s44, s44, exec_lo
	s_and_saveexec_b32 s47, s46
	s_cbranch_execz .LBB10_706
	s_branch .LBB10_710
.LBB10_709:                             ;   in Loop: Header=BB10_707 Depth=4
	s_trap 2
	ds_load_b64 v[2:3], v0
	s_and_not1_b32 s46, s46, exec_lo
	s_mov_b32 s45, 0
	s_wait_storecnt 0x0
	s_wait_loadcnt_dscnt 0x0
	flat_load_b32 v2, v[2:3] scope:SCOPE_SYS
	s_wait_loadcnt_dscnt 0x0
	global_inv scope:SCOPE_SYS
	v_cmp_eq_u32_e32 vcc_lo, 0, v2
	s_and_b32 s47, vcc_lo, exec_lo
	s_delay_alu instid0(SALU_CYCLE_1)
	s_or_b32 s46, s46, s47
	s_mov_b32 s56, -1
	s_or_b32 s44, s44, exec_lo
	s_and_saveexec_b32 s47, s46
	s_cbranch_execz .LBB10_706
.LBB10_710:                             ;   in Loop: Header=BB10_707 Depth=4
	s_sleep 1
	s_trap 2
	ds_load_b64 v[2:3], v0
	s_wait_dscnt 0x0
	s_and_not1_b32 s44, s44, exec_lo
	v_cmp_ge_u64_e32 vcc_lo, v[2:3], v[14:15]
	s_or_not1_b32 s56, vcc_lo, exec_lo
	s_branch .LBB10_706
.LBB10_711:                             ;   in Loop: Header=BB10_545 Depth=3
	s_or_b32 exec_lo, exec_lo, s17
	s_and_saveexec_b32 s17, s43
	s_delay_alu instid0(SALU_CYCLE_1)
	s_xor_b32 s17, exec_lo, s17
	s_cbranch_execz .LBB10_713
; %bb.712:                              ;   in Loop: Header=BB10_545 Depth=3
	ds_store_b32 v0, v60
	s_trap 2
.LBB10_713:                             ;   in Loop: Header=BB10_545 Depth=3
	s_or_b32 exec_lo, exec_lo, s16
	;;#ASMSTART
	s_wakeup
	;;#ASMEND
.LBB10_714:                             ;   in Loop: Header=BB10_545 Depth=3
	s_or_b32 exec_lo, exec_lo, s15
.LBB10_715:                             ;   in Loop: Header=BB10_545 Depth=3
	s_and_not1_saveexec_b32 s14, s14
	s_cbranch_execz .LBB10_717
; %bb.716:                              ;   in Loop: Header=BB10_545 Depth=3
	;;#ASMSTART
	s_waitcnt lgkmcnt(0) vmcnt(0)
	;;#ASMEND
	s_barrier_signal -1
	s_barrier_wait -1
.LBB10_717:                             ;   in Loop: Header=BB10_545 Depth=3
	s_or_b32 exec_lo, exec_lo, s14
	v_and_b32_e32 v2, 16, v30
.LBB10_718:                             ;   in Loop: Header=BB10_545 Depth=3
	s_or_b32 exec_lo, exec_lo, s13
	s_delay_alu instid0(VALU_DEP_1) | instskip(SKIP_1) | instid1(SALU_CYCLE_1)
	v_cmp_ne_u32_e32 vcc_lo, 0, v2
	s_xor_b32 s13, s3, -1
	s_and_b32 s14, vcc_lo, s13
	s_delay_alu instid0(SALU_CYCLE_1)
	s_and_saveexec_b32 s13, s14
	s_cbranch_execz .LBB10_720
; %bb.719:                              ;   in Loop: Header=BB10_545 Depth=3
	global_wb scope:SCOPE_SYS
	s_wait_storecnt 0x0
	s_wait_loadcnt_dscnt 0x0
	flat_store_b32 v[34:35], v60 scope:SCOPE_SYS
.LBB10_720:                             ;   in Loop: Header=BB10_545 Depth=3
	s_wait_xcnt 0x0
	s_or_b32 exec_lo, exec_lo, s13
	v_and_b32_e32 v2, 48, v30
	s_mov_b32 s13, exec_lo
	s_delay_alu instid0(VALU_DEP_1)
	v_cmpx_ne_u32_e32 0, v2
	s_cbranch_execz .LBB10_544
; %bb.721:                              ;   in Loop: Header=BB10_545 Depth=3
	v_add_nc_u64_e32 v[100:101], 2, v[100:101]
	global_wb scope:SCOPE_SYS
	s_wait_storecnt 0x0
	s_wait_loadcnt_dscnt 0x0
	flat_store_b64 v[26:27], v[100:101] scope:SCOPE_SYS
	s_branch .LBB10_544
.LBB10_722:                             ;   in Loop: Header=BB10_542 Depth=2
	s_or_b32 exec_lo, exec_lo, s40
.LBB10_723:                             ;   in Loop: Header=BB10_542 Depth=2
	s_delay_alu instid0(SALU_CYCLE_1) | instskip(NEXT) | instid1(SALU_CYCLE_1)
	s_or_b32 exec_lo, exec_lo, s29
	s_mov_b32 s14, exec_lo
	v_cmpx_gt_i32_e32 2, v2
	s_cbranch_execz .LBB10_799
; %bb.724:                              ;   in Loop: Header=BB10_542 Depth=2
	v_cmp_eq_u32_e64 s16, 0, v2
	s_mov_b32 s15, 0
	s_branch .LBB10_726
.LBB10_725:                             ;   in Loop: Header=BB10_726 Depth=3
	s_wait_xcnt 0x0
	s_or_b32 exec_lo, exec_lo, s13
	v_add_nc_u32_e32 v112, v114, v112
	s_mov_b32 s16, 0
	s_and_not1_b32 exec_lo, exec_lo, s15
	s_cbranch_execz .LBB10_798
.LBB10_726:                             ;   Parent Loop BB10_73 Depth=1
                                        ;     Parent Loop BB10_542 Depth=2
                                        ; =>    This Loop Header: Depth=3
                                        ;         Child Loop BB10_732 Depth 4
                                        ;         Child Loop BB10_760 Depth 4
	;; [unrolled: 1-line block ×3, first 2 shown]
	s_delay_alu instid0(VALU_DEP_1) | instskip(SKIP_1) | instid1(VALU_DEP_1)
	v_dual_sub_nc_u32 v2, v72, v112 :: v_dual_bitop2_b32 v3, 12, v30 bitop3:0x40
	s_mov_b32 s17, exec_lo
	v_min_i32_e32 v114, v114, v2
	s_delay_alu instid0(VALU_DEP_2)
	v_cmpx_ne_u32_e32 0, v3
	s_cbranch_execz .LBB10_752
; %bb.727:                              ;   in Loop: Header=BB10_726 Depth=3
	v_and_b32_e32 v48, 8, v30
	v_add_nc_u64_e32 v[2:3], 2, v[100:101]
	s_mov_b32 s29, exec_lo
	s_wait_loadcnt_dscnt 0x1
	s_delay_alu instid0(VALU_DEP_2) | instskip(NEXT) | instid1(VALU_DEP_1)
	v_add_nc_u64_e32 v[4:5], v[36:37], v[48:49]
	v_cmpx_lt_u64_e64 v[4:5], v[2:3]
	s_cbranch_execz .LBB10_739
; %bb.728:                              ;   in Loop: Header=BB10_726 Depth=3
	v_and_b32_e32 v4, 64, v30
	s_mov_b32 s40, 0
	s_mov_b32 s44, 0
                                        ; implicit-def: $sgpr41
                                        ; implicit-def: $sgpr42
                                        ; implicit-def: $sgpr43
	s_delay_alu instid0(VALU_DEP_1)
	v_cmp_eq_u32_e32 vcc_lo, 0, v4
	s_branch .LBB10_732
.LBB10_729:                             ;   in Loop: Header=BB10_732 Depth=4
	s_wait_loadcnt_dscnt 0x0
	v_add_nc_u64_e32 v[116:117], v[36:37], v[48:49]
	s_or_b32 s47, s47, exec_lo
	s_delay_alu instid0(VALU_DEP_1)
	v_cmp_ge_u64_e64 s13, v[116:117], v[2:3]
	s_or_not1_b32 s46, s13, exec_lo
.LBB10_730:                             ;   in Loop: Header=BB10_732 Depth=4
	s_or_b32 exec_lo, exec_lo, s57
	s_delay_alu instid0(SALU_CYCLE_1)
	s_and_not1_b32 s13, s43, exec_lo
	s_and_b32 s43, s47, exec_lo
	s_and_not1_b32 s42, s42, exec_lo
	s_and_b32 s46, s46, exec_lo
	s_or_b32 s43, s13, s43
	s_or_b32 s42, s42, s46
.LBB10_731:                             ;   in Loop: Header=BB10_732 Depth=4
	s_or_b32 exec_lo, exec_lo, s45
	s_delay_alu instid0(SALU_CYCLE_1) | instskip(NEXT) | instid1(SALU_CYCLE_1)
	s_and_b32 s13, exec_lo, s42
	s_or_b32 s40, s13, s40
	s_and_not1_b32 s13, s41, exec_lo
	s_and_b32 s41, s43, exec_lo
	s_delay_alu instid0(SALU_CYCLE_1)
	s_or_b32 s41, s13, s41
	s_and_not1_b32 exec_lo, exec_lo, s40
	s_cbranch_execz .LBB10_736
.LBB10_732:                             ;   Parent Loop BB10_73 Depth=1
                                        ;     Parent Loop BB10_542 Depth=2
                                        ;       Parent Loop BB10_726 Depth=3
                                        ; =>      This Inner Loop Header: Depth=4
	s_sleep 1
	s_wait_loadcnt_dscnt 0x0
	flat_load_b64 v[36:37], v[26:27] scope:SCOPE_SYS
	s_or_b32 s43, s43, exec_lo
	s_or_b32 s42, s42, exec_lo
                                        ; implicit-def: $vgpr4
	s_wait_xcnt 0x0
	s_and_saveexec_b32 s45, vcc_lo
	s_cbranch_execz .LBB10_731
; %bb.733:                              ;   in Loop: Header=BB10_732 Depth=4
	s_cmp_lt_i32 s44, 0x270f
	s_mov_b32 s46, -1
	s_cselect_b32 s56, -1, 0
	s_cmp_gt_i32 s44, 0x270e
	s_cbranch_scc0 .LBB10_735
; %bb.734:                              ;   in Loop: Header=BB10_732 Depth=4
	s_trap 2
	ds_load_b64 v[4:5], v0
	s_and_not1_b32 s44, s56, exec_lo
	s_mov_b32 s47, 0
	s_wait_storecnt 0x0
	s_wait_loadcnt_dscnt 0x0
	flat_load_b32 v4, v[4:5] scope:SCOPE_SYS
	s_wait_loadcnt_dscnt 0x0
	global_inv scope:SCOPE_SYS
	v_cmp_eq_u32_e64 s13, 0, v4
	s_and_b32 s13, s13, exec_lo
	s_delay_alu instid0(SALU_CYCLE_1)
	s_or_b32 s56, s44, s13
	s_mov_b32 s44, 0
	s_and_saveexec_b32 s57, s56
	s_cbranch_execz .LBB10_730
	s_branch .LBB10_729
.LBB10_735:                             ;   in Loop: Header=BB10_732 Depth=4
	s_add_co_i32 s44, s44, 1
	s_mov_b32 s47, -1
                                        ; implicit-def: $vgpr4
	s_and_saveexec_b32 s57, s56
	s_cbranch_execz .LBB10_730
	s_branch .LBB10_729
.LBB10_736:                             ;   in Loop: Header=BB10_726 Depth=3
	s_or_b32 exec_lo, exec_lo, s40
	s_xor_b32 s13, s41, -1
	s_delay_alu instid0(SALU_CYCLE_1) | instskip(NEXT) | instid1(SALU_CYCLE_1)
	s_and_saveexec_b32 s40, s13
	s_xor_b32 s13, exec_lo, s40
	s_cbranch_execz .LBB10_738
; %bb.737:                              ;   in Loop: Header=BB10_726 Depth=3
	v_or_b32_e32 v30, 64, v30
	s_wait_storecnt 0x0
	s_wait_loadcnt_dscnt 0x0
	ds_store_b32 v0, v4
	s_trap 2
.LBB10_738:                             ;   in Loop: Header=BB10_726 Depth=3
	s_or_b32 exec_lo, exec_lo, s13
.LBB10_739:                             ;   in Loop: Header=BB10_726 Depth=3
	s_delay_alu instid0(SALU_CYCLE_1) | instskip(SKIP_2) | instid1(VALU_DEP_1)
	s_or_b32 exec_lo, exec_lo, s29
	v_and_b32_e32 v4, 0x108, v30
	;;#ASMSTART
	s_wakeup
	;;#ASMEND
	v_cmp_ne_u32_e32 vcc_lo, 0x108, v4
                                        ; implicit-def: $vgpr4_vgpr5
	s_and_saveexec_b32 s13, vcc_lo
	s_delay_alu instid0(SALU_CYCLE_1)
	s_xor_b32 s13, exec_lo, s13
; %bb.740:                              ;   in Loop: Header=BB10_726 Depth=3
	v_dual_mov_b32 v5, v49 :: v_dual_bitop2_b32 v4, 7, v100 bitop3:0x40
                                        ; implicit-def: $vgpr100_vgpr101
; %bb.741:                              ;   in Loop: Header=BB10_726 Depth=3
	s_and_not1_saveexec_b32 s13, s13
	s_cbranch_execz .LBB10_743
; %bb.742:                              ;   in Loop: Header=BB10_726 Depth=3
	v_dual_ashrrev_i32 v115, 31, v114 :: v_dual_bitop2_b32 v4, 7, v100 bitop3:0x40
	v_mov_b32_e32 v5, v49
	s_delay_alu instid0(VALU_DEP_2)
	v_mad_nc_u64_u32 v[100:101], v4, 24, v[12:13]
	flat_store_b64 v[100:101], v[114:115] offset:8
.LBB10_743:                             ;   in Loop: Header=BB10_726 Depth=3
	s_wait_xcnt 0x0
	s_or_b32 exec_lo, exec_lo, s13
	v_and_b32_e32 v100, 0x100, v30
	s_mov_b32 s13, -1
	s_delay_alu instid0(VALU_DEP_1)
	v_cmp_ne_u32_e32 vcc_lo, 0, v100
                                        ; implicit-def: $vgpr100_vgpr101
	s_and_saveexec_b32 s29, vcc_lo
	s_cbranch_execz .LBB10_747
; %bb.744:                              ;   in Loop: Header=BB10_726 Depth=3
	v_mad_nc_u64_u32 v[116:117], v4, 24, v[12:13]
	s_delay_alu instid0(VALU_DEP_1)
	v_mad_u32 v117, v5, 24, v117
	flat_load_b32 v100, v[116:117]
	s_wait_loadcnt_dscnt 0x0
	v_cmp_eq_u32_e64 s13, 1, v100
	v_cmp_ne_u32_e32 vcc_lo, 1, v100
                                        ; implicit-def: $vgpr100_vgpr101
	s_wait_xcnt 0x0
	s_and_saveexec_b32 s40, s13
	s_cbranch_execz .LBB10_746
; %bb.745:                              ;   in Loop: Header=BB10_726 Depth=3
	flat_load_b32 v100, v[116:117] offset:4 scope:SCOPE_SYS
	s_wait_loadcnt_dscnt 0x0
	v_ashrrev_i32_e32 v101, 31, v100
.LBB10_746:                             ;   in Loop: Header=BB10_726 Depth=3
	s_wait_xcnt 0x0
	s_or_b32 exec_lo, exec_lo, s40
	s_delay_alu instid0(SALU_CYCLE_1)
	s_or_not1_b32 s13, vcc_lo, exec_lo
.LBB10_747:                             ;   in Loop: Header=BB10_726 Depth=3
	s_or_b32 exec_lo, exec_lo, s29
	s_and_saveexec_b32 s29, s13
; %bb.748:                              ;   in Loop: Header=BB10_726 Depth=3
	v_mul_u64_e32 v[100:101], v[4:5], v[28:29]
; %bb.749:                              ;   in Loop: Header=BB10_726 Depth=3
	s_or_b32 exec_lo, exec_lo, s29
	v_cmp_eq_u32_e32 vcc_lo, 0, v48
	s_delay_alu instid0(VALU_DEP_2) | instskip(SKIP_3) | instid1(VALU_DEP_1)
	v_add_nc_u64_e32 v[4:5], v[32:33], v[100:101]
	v_and_b32_e32 v113, 0x2000, v30
	s_mov_b32 s13, exec_lo
	v_cndmask_b32_e32 v48, 0xd0, v61, vcc_lo
	v_add_nc_u32_e32 v48, v0, v48
	ds_store_b64 v48, v[4:5] offset:584
	v_cmpx_ne_u32_e32 0, v113
	s_cbranch_execz .LBB10_751
; %bb.750:                              ;   in Loop: Header=BB10_726 Depth=3
	ds_load_b64 v[4:5], v0 offset:872
	s_wait_dscnt 0x0
	v_add_nc_u64_e32 v[4:5], 1, v[4:5]
	ds_store_b64 v0, v[4:5] offset:872
.LBB10_751:                             ;   in Loop: Header=BB10_726 Depth=3
	s_or_b32 exec_lo, exec_lo, s13
	v_mov_b64_e32 v[100:101], v[2:3]
.LBB10_752:                             ;   in Loop: Header=BB10_726 Depth=3
	s_or_b32 exec_lo, exec_lo, s17
	s_xor_b32 s13, s16, -1
	s_delay_alu instid0(SALU_CYCLE_1) | instskip(NEXT) | instid1(SALU_CYCLE_1)
	s_and_b32 s13, exec_lo, s13
	s_or_b32 s15, s13, s15
	s_and_saveexec_b32 s13, s1
	s_cbranch_execz .LBB10_771
; %bb.753:                              ;   in Loop: Header=BB10_726 Depth=3
	s_and_saveexec_b32 s16, s2
	s_delay_alu instid0(SALU_CYCLE_1)
	s_xor_b32 s16, exec_lo, s16
	s_cbranch_execz .LBB10_768
; %bb.754:                              ;   in Loop: Header=BB10_726 Depth=3
	s_and_saveexec_b32 s17, s5
	s_cbranch_execz .LBB10_767
; %bb.755:                              ;   in Loop: Header=BB10_726 Depth=3
	s_mov_b32 s40, exec_lo
	s_mov_b32 s29, exec_lo
	v_mbcnt_lo_u32_b32 v2, s40, 0
	global_wb scope:SCOPE_DEV
	s_wait_storecnt 0x0
	s_wait_loadcnt_dscnt 0x0
	global_inv scope:SCOPE_DEV
	v_cmpx_eq_u32_e32 0, v2
	s_cbranch_execz .LBB10_757
; %bb.756:                              ;   in Loop: Header=BB10_726 Depth=3
	s_bcnt1_i32_b32 s40, s40
	s_delay_alu instid0(SALU_CYCLE_1)
	v_mov_b32_e32 v48, s40
	s_wait_loadcnt 0x0
	ds_add_u64 v0, v[48:49]
	s_trap 2
.LBB10_757:                             ;   in Loop: Header=BB10_726 Depth=3
	s_or_b32 exec_lo, exec_lo, s29
	s_trap 2
	ds_load_b64 v[2:3], v0
	s_wait_dscnt 0x0
	v_add_nc_u64_e32 v[14:15], v[14:15], v[50:51]
	s_mov_b32 s29, exec_lo
	s_delay_alu instid0(VALU_DEP_1)
	v_cmpx_lt_u64_e64 v[2:3], v[14:15]
	s_cbranch_execz .LBB10_766
; %bb.758:                              ;   in Loop: Header=BB10_726 Depth=3
	s_mov_b32 s40, 0
	s_mov_b32 s43, 0
                                        ; implicit-def: $sgpr41
                                        ; implicit-def: $sgpr42
	s_branch .LBB10_760
.LBB10_759:                             ;   in Loop: Header=BB10_760 Depth=4
	s_or_b32 exec_lo, exec_lo, s45
	s_delay_alu instid0(SALU_CYCLE_1) | instskip(NEXT) | instid1(SALU_CYCLE_1)
	s_and_b32 s44, exec_lo, s46
	s_or_b32 s40, s44, s40
	s_and_not1_b32 s41, s41, exec_lo
	s_and_b32 s44, s42, exec_lo
	s_delay_alu instid0(SALU_CYCLE_1)
	s_or_b32 s41, s41, s44
	s_and_not1_b32 exec_lo, exec_lo, s40
	s_cbranch_execz .LBB10_764
.LBB10_760:                             ;   Parent Loop BB10_73 Depth=1
                                        ;     Parent Loop BB10_542 Depth=2
                                        ;       Parent Loop BB10_726 Depth=3
                                        ; =>      This Inner Loop Header: Depth=4
	s_add_co_i32 s43, s43, 1
	s_delay_alu instid0(SALU_CYCLE_1) | instskip(SKIP_1) | instid1(SALU_CYCLE_1)
	s_cmp_lg_u32 s43, 0x2710
	s_cselect_b32 s44, -1, 0
	s_and_b32 vcc_lo, exec_lo, s44
	s_cbranch_vccz .LBB10_762
; %bb.761:                              ;   in Loop: Header=BB10_760 Depth=4
	s_mov_b32 s46, -1
	s_or_b32 s42, s42, exec_lo
	s_and_saveexec_b32 s45, s44
	s_cbranch_execz .LBB10_759
	s_branch .LBB10_763
.LBB10_762:                             ;   in Loop: Header=BB10_760 Depth=4
	s_trap 2
	ds_load_b64 v[2:3], v0
	s_and_not1_b32 s44, s44, exec_lo
	s_mov_b32 s43, 0
	s_wait_loadcnt_dscnt 0x0
	flat_load_b32 v2, v[2:3] scope:SCOPE_SYS
	s_wait_loadcnt_dscnt 0x0
	global_inv scope:SCOPE_SYS
	v_cmp_eq_u32_e32 vcc_lo, 0, v2
	s_and_b32 s45, vcc_lo, exec_lo
	s_delay_alu instid0(SALU_CYCLE_1)
	s_or_b32 s44, s44, s45
	s_mov_b32 s46, -1
	s_or_b32 s42, s42, exec_lo
	s_and_saveexec_b32 s45, s44
	s_cbranch_execz .LBB10_759
.LBB10_763:                             ;   in Loop: Header=BB10_760 Depth=4
	s_sleep 1
	s_trap 2
	ds_load_b64 v[2:3], v0
	s_wait_dscnt 0x0
	s_and_not1_b32 s42, s42, exec_lo
	v_cmp_ge_u64_e32 vcc_lo, v[2:3], v[14:15]
	s_or_not1_b32 s46, vcc_lo, exec_lo
	s_branch .LBB10_759
.LBB10_764:                             ;   in Loop: Header=BB10_726 Depth=3
	s_or_b32 exec_lo, exec_lo, s40
	s_and_saveexec_b32 s40, s41
	s_delay_alu instid0(SALU_CYCLE_1)
	s_xor_b32 s40, exec_lo, s40
	s_cbranch_execz .LBB10_766
; %bb.765:                              ;   in Loop: Header=BB10_726 Depth=3
	ds_store_b32 v0, v60
	s_trap 2
.LBB10_766:                             ;   in Loop: Header=BB10_726 Depth=3
	s_or_b32 exec_lo, exec_lo, s29
	;;#ASMSTART
	s_wakeup
	;;#ASMEND
.LBB10_767:                             ;   in Loop: Header=BB10_726 Depth=3
	s_or_b32 exec_lo, exec_lo, s17
.LBB10_768:                             ;   in Loop: Header=BB10_726 Depth=3
	s_and_not1_saveexec_b32 s16, s16
	s_cbranch_execz .LBB10_770
; %bb.769:                              ;   in Loop: Header=BB10_726 Depth=3
	global_wb scope:SCOPE_DEV
	s_wait_storecnt 0x0
	s_wait_loadcnt_dscnt 0x0
	global_inv scope:SCOPE_DEV
	s_barrier_signal -1
	s_barrier_wait -1
.LBB10_770:                             ;   in Loop: Header=BB10_726 Depth=3
	s_or_b32 exec_lo, exec_lo, s16
.LBB10_771:                             ;   in Loop: Header=BB10_726 Depth=3
	s_delay_alu instid0(SALU_CYCLE_1) | instskip(SKIP_1) | instid1(SALU_CYCLE_1)
	s_or_b32 exec_lo, exec_lo, s13
                                        ; implicit-def: $vgpr2
	s_and_saveexec_b32 s13, s26
	s_xor_b32 s13, exec_lo, s13
	s_cbranch_execz .LBB10_783
; %bb.772:                              ;   in Loop: Header=BB10_726 Depth=3
	s_and_saveexec_b32 s16, s2
	s_delay_alu instid0(SALU_CYCLE_1)
	s_xor_b32 s16, exec_lo, s16
	s_cbranch_execz .LBB10_788
; %bb.773:                              ;   in Loop: Header=BB10_726 Depth=3
	s_and_saveexec_b32 s17, s5
	s_cbranch_execz .LBB10_787
; %bb.774:                              ;   in Loop: Header=BB10_726 Depth=3
	s_mov_b32 s40, exec_lo
	s_mov_b32 s29, exec_lo
	v_mbcnt_lo_u32_b32 v2, s40, 0
	;;#ASMSTART
	s_waitcnt lgkmcnt(0) vmcnt(0)
	;;#ASMEND
	s_delay_alu instid0(VALU_DEP_1)
	v_cmpx_eq_u32_e32 0, v2
	s_cbranch_execz .LBB10_776
; %bb.775:                              ;   in Loop: Header=BB10_726 Depth=3
	s_bcnt1_i32_b32 s40, s40
	s_delay_alu instid0(SALU_CYCLE_1)
	v_mov_b32_e32 v48, s40
	s_wait_storecnt 0x0
	s_wait_loadcnt_dscnt 0x0
	ds_add_u64 v0, v[48:49]
	s_trap 2
.LBB10_776:                             ;   in Loop: Header=BB10_726 Depth=3
	s_or_b32 exec_lo, exec_lo, s29
	s_trap 2
	ds_load_b64 v[2:3], v0
	s_wait_dscnt 0x0
	v_add_nc_u64_e32 v[14:15], v[14:15], v[50:51]
	s_mov_b32 s29, exec_lo
	s_delay_alu instid0(VALU_DEP_1)
	v_cmpx_lt_u64_e64 v[2:3], v[14:15]
	s_cbranch_execz .LBB10_786
; %bb.777:                              ;   in Loop: Header=BB10_726 Depth=3
	s_mov_b32 s40, 0
	s_mov_b32 s43, 0
                                        ; implicit-def: $sgpr41
                                        ; implicit-def: $sgpr42
	s_branch .LBB10_779
.LBB10_778:                             ;   in Loop: Header=BB10_779 Depth=4
	s_or_b32 exec_lo, exec_lo, s45
	s_delay_alu instid0(SALU_CYCLE_1) | instskip(NEXT) | instid1(SALU_CYCLE_1)
	s_and_b32 s44, exec_lo, s46
	s_or_b32 s40, s44, s40
	s_and_not1_b32 s41, s41, exec_lo
	s_and_b32 s44, s42, exec_lo
	s_delay_alu instid0(SALU_CYCLE_1)
	s_or_b32 s41, s41, s44
	s_and_not1_b32 exec_lo, exec_lo, s40
	s_cbranch_execz .LBB10_784
.LBB10_779:                             ;   Parent Loop BB10_73 Depth=1
                                        ;     Parent Loop BB10_542 Depth=2
                                        ;       Parent Loop BB10_726 Depth=3
                                        ; =>      This Inner Loop Header: Depth=4
	s_add_co_i32 s43, s43, 1
	s_delay_alu instid0(SALU_CYCLE_1) | instskip(SKIP_1) | instid1(SALU_CYCLE_1)
	s_cmp_lg_u32 s43, 0x2710
	s_cselect_b32 s44, -1, 0
	s_and_b32 vcc_lo, exec_lo, s44
	s_cbranch_vccz .LBB10_781
; %bb.780:                              ;   in Loop: Header=BB10_779 Depth=4
	s_mov_b32 s46, -1
	s_or_b32 s42, s42, exec_lo
	s_and_saveexec_b32 s45, s44
	s_cbranch_execz .LBB10_778
	s_branch .LBB10_782
.LBB10_781:                             ;   in Loop: Header=BB10_779 Depth=4
	s_trap 2
	ds_load_b64 v[2:3], v0
	s_and_not1_b32 s44, s44, exec_lo
	s_mov_b32 s43, 0
	s_wait_storecnt 0x0
	s_wait_loadcnt_dscnt 0x0
	flat_load_b32 v2, v[2:3] scope:SCOPE_SYS
	s_wait_loadcnt_dscnt 0x0
	global_inv scope:SCOPE_SYS
	v_cmp_eq_u32_e32 vcc_lo, 0, v2
	s_and_b32 s45, vcc_lo, exec_lo
	s_delay_alu instid0(SALU_CYCLE_1)
	s_or_b32 s44, s44, s45
	s_mov_b32 s46, -1
	s_or_b32 s42, s42, exec_lo
	s_and_saveexec_b32 s45, s44
	s_cbranch_execz .LBB10_778
.LBB10_782:                             ;   in Loop: Header=BB10_779 Depth=4
	s_sleep 1
	s_trap 2
	ds_load_b64 v[2:3], v0
	s_wait_dscnt 0x0
	s_and_not1_b32 s42, s42, exec_lo
	v_cmp_ge_u64_e32 vcc_lo, v[2:3], v[14:15]
	s_or_not1_b32 s46, vcc_lo, exec_lo
	s_branch .LBB10_778
.LBB10_783:                             ;   in Loop: Header=BB10_726 Depth=3
	s_and_not1_saveexec_b32 s16, s13
	s_cbranch_execnz .LBB10_791
	s_branch .LBB10_794
.LBB10_784:                             ;   in Loop: Header=BB10_726 Depth=3
	s_or_b32 exec_lo, exec_lo, s40
	s_and_saveexec_b32 s40, s41
	s_delay_alu instid0(SALU_CYCLE_1)
	s_xor_b32 s40, exec_lo, s40
	s_cbranch_execz .LBB10_786
; %bb.785:                              ;   in Loop: Header=BB10_726 Depth=3
	ds_store_b32 v0, v60
	s_trap 2
.LBB10_786:                             ;   in Loop: Header=BB10_726 Depth=3
	s_or_b32 exec_lo, exec_lo, s29
	;;#ASMSTART
	s_wakeup
	;;#ASMEND
.LBB10_787:                             ;   in Loop: Header=BB10_726 Depth=3
	s_or_b32 exec_lo, exec_lo, s17
.LBB10_788:                             ;   in Loop: Header=BB10_726 Depth=3
	s_and_not1_saveexec_b32 s16, s16
	s_cbranch_execz .LBB10_790
; %bb.789:                              ;   in Loop: Header=BB10_726 Depth=3
	;;#ASMSTART
	s_waitcnt lgkmcnt(0) vmcnt(0)
	;;#ASMEND
	s_barrier_signal -1
	s_barrier_wait -1
.LBB10_790:                             ;   in Loop: Header=BB10_726 Depth=3
	s_or_b32 exec_lo, exec_lo, s16
	v_and_b32_e32 v2, 16, v30
	s_and_not1_saveexec_b32 s16, s13
	s_cbranch_execz .LBB10_794
.LBB10_791:                             ;   in Loop: Header=BB10_726 Depth=3
	s_trap 2
	ds_load_b32 v2, v0
	v_cmp_lt_i32_e32 vcc_lo, 0, v114
	s_wait_dscnt 0x0
	v_readfirstlane_b32 s13, v2
	v_and_b32_e32 v2, 16, v30
	s_cmp_eq_u32 s13, 0
	s_delay_alu instid0(VALU_DEP_1) | instskip(SKIP_3) | instid1(SALU_CYCLE_1)
	v_cmp_ne_u32_e64 s13, 0, v2
	s_cselect_b32 s17, -1, 0
	v_and_b32_e32 v2, 16, v30
	s_and_b32 s17, vcc_lo, s17
	s_and_b32 s17, s13, s17
	s_delay_alu instid0(SALU_CYCLE_1)
	s_and_saveexec_b32 s13, s17
	s_cbranch_execz .LBB10_793
; %bb.792:                              ;   in Loop: Header=BB10_726 Depth=3
	v_mov_b32_e32 v2, 1
	global_wb scope:SCOPE_SYS
	s_wait_loadcnt 0x0
	s_wait_storecnt 0x0
	global_inv scope:SCOPE_SYS
.LBB10_793:                             ;   in Loop: Header=BB10_726 Depth=3
	s_or_b32 exec_lo, exec_lo, s13
.LBB10_794:                             ;   in Loop: Header=BB10_726 Depth=3
	s_delay_alu instid0(SALU_CYCLE_1) | instskip(NEXT) | instid1(VALU_DEP_1)
	s_or_b32 exec_lo, exec_lo, s16
	v_cmp_ne_u32_e32 vcc_lo, 0, v2
	s_xor_b32 s13, s3, -1
	s_delay_alu instid0(SALU_CYCLE_1) | instskip(NEXT) | instid1(SALU_CYCLE_1)
	s_and_b32 s16, vcc_lo, s13
	s_and_saveexec_b32 s13, s16
	s_cbranch_execz .LBB10_796
; %bb.795:                              ;   in Loop: Header=BB10_726 Depth=3
	global_wb scope:SCOPE_SYS
	s_wait_storecnt 0x0
	s_wait_loadcnt_dscnt 0x0
	flat_store_b32 v[34:35], v60 scope:SCOPE_SYS
.LBB10_796:                             ;   in Loop: Header=BB10_726 Depth=3
	s_wait_xcnt 0x0
	s_or_b32 exec_lo, exec_lo, s13
	v_and_b32_e32 v2, 48, v30
	s_mov_b32 s13, exec_lo
	s_delay_alu instid0(VALU_DEP_1)
	v_cmpx_ne_u32_e32 0, v2
	s_cbranch_execz .LBB10_725
; %bb.797:                              ;   in Loop: Header=BB10_726 Depth=3
	v_add_nc_u64_e32 v[100:101], 2, v[100:101]
	global_wb scope:SCOPE_SYS
	s_wait_storecnt 0x0
	s_wait_loadcnt_dscnt 0x0
	flat_store_b64 v[26:27], v[100:101] scope:SCOPE_SYS
	s_branch .LBB10_725
.LBB10_798:                             ;   in Loop: Header=BB10_542 Depth=2
	s_or_b32 exec_lo, exec_lo, s15
.LBB10_799:                             ;   in Loop: Header=BB10_542 Depth=2
	s_delay_alu instid0(SALU_CYCLE_1)
	s_or_b32 exec_lo, exec_lo, s14
	s_add_co_i32 s13, s28, 1
	s_cmp_eq_u32 s28, s25
	s_cbranch_scc1 .LBB10_801
; %bb.800:                              ;   in Loop: Header=BB10_542 Depth=2
	s_mov_b32 s28, s13
	s_branch .LBB10_542
.LBB10_801:                             ;   in Loop: Header=BB10_73 Depth=1
	v_dual_mov_b32 v3, 0 :: v_dual_mov_b32 v2, 0
	s_and_saveexec_b32 s13, s12
	s_cbranch_execz .LBB10_941
; %bb.802:                              ;   in Loop: Header=BB10_73 Depth=1
	flat_load_b32 v2, v[18:19] offset:4
	s_mov_b32 s16, 1
	s_mov_b32 s15, -1
	s_mov_b32 s14, 0
	s_wait_loadcnt_dscnt 0x0
	v_mad_nc_u64_u32 v[4:5], v20, v2, v[102:103]
	s_delay_alu instid0(VALU_DEP_1) | instskip(SKIP_1) | instid1(VALU_DEP_1)
	v_mad_u32 v3, v21, v2, v5
	v_ashrrev_i32_e32 v2, 31, v2
	v_mad_u32 v5, v20, v2, v3
	v_mov_b32_e32 v2, 0
	s_branch .LBB10_804
.LBB10_803:                             ;   in Loop: Header=BB10_804 Depth=2
	s_wait_xcnt 0x0
	s_or_b32 exec_lo, exec_lo, s12
	v_dual_mov_b32 v3, s16 :: v_dual_add_nc_u32 v2, v73, v2
	s_xor_b32 s12, s15, -1
	s_mov_b32 s15, 0
	s_mov_b32 s16, 2
	s_delay_alu instid0(VALU_DEP_1) | instskip(SKIP_1) | instid1(SALU_CYCLE_1)
	v_cmp_ge_i32_e32 vcc_lo, v2, v72
	s_or_b32 s12, s12, vcc_lo
	s_and_b32 s12, exec_lo, s12
	s_delay_alu instid0(SALU_CYCLE_1) | instskip(NEXT) | instid1(SALU_CYCLE_1)
	s_or_b32 s14, s12, s14
	s_and_not1_b32 exec_lo, exec_lo, s14
	s_cbranch_execz .LBB10_940
.LBB10_804:                             ;   Parent Loop BB10_73 Depth=1
                                        ; =>  This Loop Header: Depth=2
                                        ;       Child Loop BB10_812 Depth 3
                                        ;       Child Loop BB10_836 Depth 3
	;; [unrolled: 1-line block ×9, first 2 shown]
	s_wait_xcnt 0x0
	s_and_saveexec_b32 s12, s0
	s_cbranch_execz .LBB10_806
; %bb.805:                              ;   in Loop: Header=BB10_804 Depth=2
	s_trap 2
	ds_load_b128 v[112:115], v0
	s_wait_dscnt 0x0
	v_add_nc_u64_e32 v[102:103], v[114:115], v[4:5]
	v_cmp_ne_u64_e32 vcc_lo, 0, v[114:115]
	v_ashrrev_i32_e32 v3, 31, v2
	v_add_nc_u64_e32 v[112:113], v[112:113], v[4:5]
	s_delay_alu instid0(VALU_DEP_2) | instskip(NEXT) | instid1(VALU_DEP_1)
	v_add_nc_u64_e32 v[102:103], v[102:103], v[2:3]
	v_cndmask_b32_e32 v103, 0, v103, vcc_lo
	s_delay_alu instid0(VALU_DEP_3) | instskip(NEXT) | instid1(VALU_DEP_3)
	v_add_nc_u64_e32 v[112:113], v[112:113], v[2:3]
	v_cndmask_b32_e32 v102, 0, v102, vcc_lo
	ds_store_b64 v0, v[112:113]
	ds_store_b64 v0, v[102:103]
.LBB10_806:                             ;   in Loop: Header=BB10_804 Depth=2
	s_or_b32 exec_lo, exec_lo, s12
	v_and_b32_e32 v3, 4, v30
	s_mov_b32 s17, exec_lo
	s_delay_alu instid0(VALU_DEP_1)
	v_cmpx_ne_u32_e32 0, v3
	s_cbranch_execz .LBB10_828
; %bb.807:                              ;   in Loop: Header=BB10_804 Depth=2
	v_add_nc_u64_e32 v[102:103], 2, v[100:101]
	s_mov_b32 s28, exec_lo
	s_wait_loadcnt 0x0
	s_delay_alu instid0(VALU_DEP_1)
	v_cmpx_lt_u64_e64 v[36:37], v[102:103]
	s_cbranch_execz .LBB10_819
; %bb.808:                              ;   in Loop: Header=BB10_804 Depth=2
	v_and_b32_e32 v3, 64, v30
	s_mov_b32 s29, 0
	s_mov_b32 s43, 0
                                        ; implicit-def: $sgpr40
                                        ; implicit-def: $sgpr41
                                        ; implicit-def: $sgpr42
	s_delay_alu instid0(VALU_DEP_1)
	v_cmp_eq_u32_e32 vcc_lo, 0, v3
	s_branch .LBB10_812
.LBB10_809:                             ;   in Loop: Header=BB10_812 Depth=3
	s_wait_loadcnt_dscnt 0x0
	v_cmp_ge_u64_e64 s12, v[36:37], v[102:103]
	s_or_b32 s46, s46, exec_lo
	s_or_not1_b32 s45, s12, exec_lo
.LBB10_810:                             ;   in Loop: Header=BB10_812 Depth=3
	s_or_b32 exec_lo, exec_lo, s56
	s_delay_alu instid0(SALU_CYCLE_1)
	s_and_not1_b32 s12, s42, exec_lo
	s_and_b32 s42, s46, exec_lo
	s_and_not1_b32 s41, s41, exec_lo
	s_and_b32 s45, s45, exec_lo
	s_or_b32 s42, s12, s42
	s_or_b32 s41, s41, s45
.LBB10_811:                             ;   in Loop: Header=BB10_812 Depth=3
	s_or_b32 exec_lo, exec_lo, s44
	s_delay_alu instid0(SALU_CYCLE_1) | instskip(NEXT) | instid1(SALU_CYCLE_1)
	s_and_b32 s12, exec_lo, s41
	s_or_b32 s29, s12, s29
	s_and_not1_b32 s12, s40, exec_lo
	s_and_b32 s40, s42, exec_lo
	s_delay_alu instid0(SALU_CYCLE_1)
	s_or_b32 s40, s12, s40
	s_and_not1_b32 exec_lo, exec_lo, s29
	s_cbranch_execz .LBB10_816
.LBB10_812:                             ;   Parent Loop BB10_73 Depth=1
                                        ;     Parent Loop BB10_804 Depth=2
                                        ; =>    This Inner Loop Header: Depth=3
	s_sleep 1
	s_wait_loadcnt_dscnt 0x0
	flat_load_b64 v[36:37], v[26:27] scope:SCOPE_SYS
	s_or_b32 s42, s42, exec_lo
	s_or_b32 s41, s41, exec_lo
                                        ; implicit-def: $vgpr3
	s_wait_xcnt 0x0
	s_and_saveexec_b32 s44, vcc_lo
	s_cbranch_execz .LBB10_811
; %bb.813:                              ;   in Loop: Header=BB10_812 Depth=3
	s_cmp_lt_i32 s43, 0x270f
	s_mov_b32 s45, -1
	s_cselect_b32 s47, -1, 0
	s_cmp_gt_i32 s43, 0x270e
	s_cbranch_scc0 .LBB10_815
; %bb.814:                              ;   in Loop: Header=BB10_812 Depth=3
	s_trap 2
	ds_load_b64 v[112:113], v0
	s_and_not1_b32 s43, s47, exec_lo
	s_mov_b32 s46, 0
	s_wait_storecnt 0x0
	s_wait_loadcnt_dscnt 0x0
	flat_load_b32 v3, v[112:113] scope:SCOPE_SYS
	s_wait_loadcnt_dscnt 0x0
	global_inv scope:SCOPE_SYS
	v_cmp_eq_u32_e64 s12, 0, v3
	s_and_b32 s12, s12, exec_lo
	s_delay_alu instid0(SALU_CYCLE_1)
	s_or_b32 s47, s43, s12
	s_mov_b32 s43, 0
	s_and_saveexec_b32 s56, s47
	s_cbranch_execz .LBB10_810
	s_branch .LBB10_809
.LBB10_815:                             ;   in Loop: Header=BB10_812 Depth=3
	s_add_co_i32 s43, s43, 1
	s_mov_b32 s46, -1
                                        ; implicit-def: $vgpr3
	s_and_saveexec_b32 s56, s47
	s_cbranch_execz .LBB10_810
	s_branch .LBB10_809
.LBB10_816:                             ;   in Loop: Header=BB10_804 Depth=2
	s_or_b32 exec_lo, exec_lo, s29
	s_xor_b32 s12, s40, -1
	s_delay_alu instid0(SALU_CYCLE_1) | instskip(NEXT) | instid1(SALU_CYCLE_1)
	s_and_saveexec_b32 s29, s12
	s_xor_b32 s12, exec_lo, s29
	s_cbranch_execz .LBB10_818
; %bb.817:                              ;   in Loop: Header=BB10_804 Depth=2
	v_or_b32_e32 v30, 64, v30
	s_wait_storecnt 0x0
	s_wait_loadcnt_dscnt 0x0
	ds_store_b32 v0, v3
	s_trap 2
.LBB10_818:                             ;   in Loop: Header=BB10_804 Depth=2
	s_or_b32 exec_lo, exec_lo, s12
.LBB10_819:                             ;   in Loop: Header=BB10_804 Depth=2
	s_delay_alu instid0(SALU_CYCLE_1)
	s_or_b32 exec_lo, exec_lo, s28
	v_and_b32_e32 v3, 0x100, v30
	v_and_b32_e32 v48, 7, v100
	s_mov_b32 s12, -1
	s_mov_b32 s28, exec_lo
	;;#ASMSTART
	s_wakeup
	;;#ASMEND
                                        ; implicit-def: $vgpr100_vgpr101
	v_cmpx_ne_u32_e32 0, v3
	s_cbranch_execz .LBB10_823
; %bb.820:                              ;   in Loop: Header=BB10_804 Depth=2
	v_mad_nc_u64_u32 v[112:113], v48, 24, v[12:13]
	s_mov_b32 s29, exec_lo
                                        ; implicit-def: $vgpr100_vgpr101
	flat_load_b32 v3, v[112:113]
	s_wait_loadcnt_dscnt 0x0
	v_cmp_ne_u32_e32 vcc_lo, 1, v3
	s_wait_xcnt 0x0
	v_cmpx_eq_u32_e32 1, v3
	s_cbranch_execz .LBB10_822
; %bb.821:                              ;   in Loop: Header=BB10_804 Depth=2
	flat_load_b32 v100, v[112:113] offset:4 scope:SCOPE_SYS
	s_wait_loadcnt_dscnt 0x0
	v_ashrrev_i32_e32 v101, 31, v100
.LBB10_822:                             ;   in Loop: Header=BB10_804 Depth=2
	s_wait_xcnt 0x0
	s_or_b32 exec_lo, exec_lo, s29
	s_delay_alu instid0(SALU_CYCLE_1)
	s_or_not1_b32 s12, vcc_lo, exec_lo
.LBB10_823:                             ;   in Loop: Header=BB10_804 Depth=2
	s_or_b32 exec_lo, exec_lo, s28
	s_and_saveexec_b32 s28, s12
; %bb.824:                              ;   in Loop: Header=BB10_804 Depth=2
	v_mul_u64_e32 v[100:101], v[48:49], v[28:29]
; %bb.825:                              ;   in Loop: Header=BB10_804 Depth=2
	s_or_b32 exec_lo, exec_lo, s28
	s_delay_alu instid0(VALU_DEP_1)
	v_add_nc_u64_e32 v[100:101], v[32:33], v[100:101]
	v_and_b32_e32 v3, 0x2000, v30
	s_mov_b32 s12, exec_lo
	ds_store_b64 v0, v[100:101] offset:720
	v_cmpx_ne_u32_e32 0, v3
	s_cbranch_execz .LBB10_827
; %bb.826:                              ;   in Loop: Header=BB10_804 Depth=2
	ds_load_b64 v[100:101], v0 offset:872
	s_wait_dscnt 0x0
	v_add_nc_u64_e32 v[100:101], 1, v[100:101]
	ds_store_b64 v0, v[100:101] offset:872
.LBB10_827:                             ;   in Loop: Header=BB10_804 Depth=2
	s_or_b32 exec_lo, exec_lo, s12
	v_mov_b64_e32 v[100:101], v[102:103]
.LBB10_828:                             ;   in Loop: Header=BB10_804 Depth=2
	s_or_b32 exec_lo, exec_lo, s17
	s_and_saveexec_b32 s12, s1
	s_cbranch_execz .LBB10_847
; %bb.829:                              ;   in Loop: Header=BB10_804 Depth=2
	s_and_saveexec_b32 s17, s2
	s_delay_alu instid0(SALU_CYCLE_1)
	s_xor_b32 s17, exec_lo, s17
	s_cbranch_execz .LBB10_844
; %bb.830:                              ;   in Loop: Header=BB10_804 Depth=2
	s_and_saveexec_b32 s28, s5
	s_cbranch_execz .LBB10_843
; %bb.831:                              ;   in Loop: Header=BB10_804 Depth=2
	s_mov_b32 s40, exec_lo
	s_mov_b32 s29, exec_lo
	v_mbcnt_lo_u32_b32 v3, s40, 0
	global_wb scope:SCOPE_DEV
	s_wait_storecnt 0x0
	s_wait_loadcnt_dscnt 0x0
	global_inv scope:SCOPE_DEV
	v_cmpx_eq_u32_e32 0, v3
	s_cbranch_execz .LBB10_833
; %bb.832:                              ;   in Loop: Header=BB10_804 Depth=2
	s_bcnt1_i32_b32 s40, s40
	s_delay_alu instid0(SALU_CYCLE_1)
	v_mov_b32_e32 v48, s40
	s_wait_loadcnt 0x0
	ds_add_u64 v0, v[48:49]
	s_trap 2
.LBB10_833:                             ;   in Loop: Header=BB10_804 Depth=2
	s_or_b32 exec_lo, exec_lo, s29
	s_trap 2
	ds_load_b64 v[102:103], v0
	s_wait_dscnt 0x0
	v_add_nc_u64_e32 v[14:15], v[14:15], v[50:51]
	s_mov_b32 s29, exec_lo
	s_delay_alu instid0(VALU_DEP_1)
	v_cmpx_lt_u64_e64 v[102:103], v[14:15]
	s_cbranch_execz .LBB10_842
; %bb.834:                              ;   in Loop: Header=BB10_804 Depth=2
	s_mov_b32 s40, 0
	s_mov_b32 s43, 0
                                        ; implicit-def: $sgpr41
                                        ; implicit-def: $sgpr42
	s_branch .LBB10_836
.LBB10_835:                             ;   in Loop: Header=BB10_836 Depth=3
	s_or_b32 exec_lo, exec_lo, s45
	s_delay_alu instid0(SALU_CYCLE_1) | instskip(NEXT) | instid1(SALU_CYCLE_1)
	s_and_b32 s44, exec_lo, s46
	s_or_b32 s40, s44, s40
	s_and_not1_b32 s41, s41, exec_lo
	s_and_b32 s44, s42, exec_lo
	s_delay_alu instid0(SALU_CYCLE_1)
	s_or_b32 s41, s41, s44
	s_and_not1_b32 exec_lo, exec_lo, s40
	s_cbranch_execz .LBB10_840
.LBB10_836:                             ;   Parent Loop BB10_73 Depth=1
                                        ;     Parent Loop BB10_804 Depth=2
                                        ; =>    This Inner Loop Header: Depth=3
	s_add_co_i32 s43, s43, 1
	s_delay_alu instid0(SALU_CYCLE_1) | instskip(SKIP_1) | instid1(SALU_CYCLE_1)
	s_cmp_lg_u32 s43, 0x2710
	s_cselect_b32 s44, -1, 0
	s_and_b32 vcc_lo, exec_lo, s44
	s_cbranch_vccz .LBB10_838
; %bb.837:                              ;   in Loop: Header=BB10_836 Depth=3
	s_mov_b32 s46, -1
	s_or_b32 s42, s42, exec_lo
	s_and_saveexec_b32 s45, s44
	s_cbranch_execz .LBB10_835
	s_branch .LBB10_839
.LBB10_838:                             ;   in Loop: Header=BB10_836 Depth=3
	s_trap 2
	ds_load_b64 v[102:103], v0
	s_and_not1_b32 s44, s44, exec_lo
	s_mov_b32 s43, 0
	s_wait_loadcnt_dscnt 0x0
	flat_load_b32 v3, v[102:103] scope:SCOPE_SYS
	s_wait_loadcnt_dscnt 0x0
	global_inv scope:SCOPE_SYS
	v_cmp_eq_u32_e32 vcc_lo, 0, v3
	s_and_b32 s45, vcc_lo, exec_lo
	s_delay_alu instid0(SALU_CYCLE_1)
	s_or_b32 s44, s44, s45
	s_mov_b32 s46, -1
	s_or_b32 s42, s42, exec_lo
	s_and_saveexec_b32 s45, s44
	s_cbranch_execz .LBB10_835
.LBB10_839:                             ;   in Loop: Header=BB10_836 Depth=3
	s_sleep 1
	s_trap 2
	ds_load_b64 v[102:103], v0
	s_wait_dscnt 0x0
	s_and_not1_b32 s42, s42, exec_lo
	v_cmp_ge_u64_e32 vcc_lo, v[102:103], v[14:15]
	s_or_not1_b32 s46, vcc_lo, exec_lo
	s_branch .LBB10_835
.LBB10_840:                             ;   in Loop: Header=BB10_804 Depth=2
	s_or_b32 exec_lo, exec_lo, s40
	s_and_saveexec_b32 s40, s41
	s_delay_alu instid0(SALU_CYCLE_1)
	s_xor_b32 s40, exec_lo, s40
	s_cbranch_execz .LBB10_842
; %bb.841:                              ;   in Loop: Header=BB10_804 Depth=2
	ds_store_b32 v0, v60
	s_trap 2
.LBB10_842:                             ;   in Loop: Header=BB10_804 Depth=2
	s_or_b32 exec_lo, exec_lo, s29
	;;#ASMSTART
	s_wakeup
	;;#ASMEND
.LBB10_843:                             ;   in Loop: Header=BB10_804 Depth=2
	s_or_b32 exec_lo, exec_lo, s28
.LBB10_844:                             ;   in Loop: Header=BB10_804 Depth=2
	s_and_not1_saveexec_b32 s17, s17
	s_cbranch_execz .LBB10_846
; %bb.845:                              ;   in Loop: Header=BB10_804 Depth=2
	global_wb scope:SCOPE_DEV
	s_wait_storecnt 0x0
	s_wait_loadcnt_dscnt 0x0
	global_inv scope:SCOPE_DEV
	s_barrier_signal -1
	s_barrier_wait -1
.LBB10_846:                             ;   in Loop: Header=BB10_804 Depth=2
	s_or_b32 exec_lo, exec_lo, s17
.LBB10_847:                             ;   in Loop: Header=BB10_804 Depth=2
	s_delay_alu instid0(SALU_CYCLE_1) | instskip(SKIP_3) | instid1(VALU_DEP_1)
	s_or_b32 exec_lo, exec_lo, s12
	s_trap 2
	ds_load_b32 v3, v0
	v_and_b32_e32 v48, 0x4000, v30
	v_cmp_ne_u32_e32 vcc_lo, 0, v48
	s_and_b32 s17, s27, vcc_lo
	s_delay_alu instid0(SALU_CYCLE_1)
	s_and_saveexec_b32 s12, s17
	s_cbranch_execz .LBB10_866
; %bb.848:                              ;   in Loop: Header=BB10_804 Depth=2
	s_and_saveexec_b32 s17, s2
	s_delay_alu instid0(SALU_CYCLE_1)
	s_xor_b32 s17, exec_lo, s17
	s_cbranch_execz .LBB10_863
; %bb.849:                              ;   in Loop: Header=BB10_804 Depth=2
	s_and_saveexec_b32 s28, s5
	s_cbranch_execz .LBB10_862
; %bb.850:                              ;   in Loop: Header=BB10_804 Depth=2
	s_mov_b32 s40, exec_lo
	s_mov_b32 s29, exec_lo
	v_mbcnt_lo_u32_b32 v48, s40, 0
	global_wb scope:SCOPE_DEV
	s_wait_storecnt 0x0
	s_wait_loadcnt_dscnt 0x0
	global_inv scope:SCOPE_DEV
	v_cmpx_eq_u32_e32 0, v48
	s_cbranch_execz .LBB10_852
; %bb.851:                              ;   in Loop: Header=BB10_804 Depth=2
	s_bcnt1_i32_b32 s40, s40
	s_delay_alu instid0(SALU_CYCLE_1)
	v_mov_b32_e32 v48, s40
	s_wait_loadcnt 0x0
	ds_add_u64 v0, v[48:49]
	s_trap 2
.LBB10_852:                             ;   in Loop: Header=BB10_804 Depth=2
	s_or_b32 exec_lo, exec_lo, s29
	s_trap 2
	ds_load_b64 v[102:103], v0
	s_wait_dscnt 0x0
	v_add_nc_u64_e32 v[14:15], v[14:15], v[50:51]
	s_mov_b32 s29, exec_lo
	s_delay_alu instid0(VALU_DEP_1)
	v_cmpx_lt_u64_e64 v[102:103], v[14:15]
	s_cbranch_execz .LBB10_861
; %bb.853:                              ;   in Loop: Header=BB10_804 Depth=2
	s_mov_b32 s40, 0
	s_mov_b32 s43, 0
                                        ; implicit-def: $sgpr41
                                        ; implicit-def: $sgpr42
	s_branch .LBB10_855
.LBB10_854:                             ;   in Loop: Header=BB10_855 Depth=3
	s_or_b32 exec_lo, exec_lo, s45
	s_delay_alu instid0(SALU_CYCLE_1) | instskip(NEXT) | instid1(SALU_CYCLE_1)
	s_and_b32 s44, exec_lo, s46
	s_or_b32 s40, s44, s40
	s_and_not1_b32 s41, s41, exec_lo
	s_and_b32 s44, s42, exec_lo
	s_delay_alu instid0(SALU_CYCLE_1)
	s_or_b32 s41, s41, s44
	s_and_not1_b32 exec_lo, exec_lo, s40
	s_cbranch_execz .LBB10_859
.LBB10_855:                             ;   Parent Loop BB10_73 Depth=1
                                        ;     Parent Loop BB10_804 Depth=2
                                        ; =>    This Inner Loop Header: Depth=3
	s_add_co_i32 s43, s43, 1
	s_delay_alu instid0(SALU_CYCLE_1) | instskip(SKIP_1) | instid1(SALU_CYCLE_1)
	s_cmp_lg_u32 s43, 0x2710
	s_cselect_b32 s44, -1, 0
	s_and_b32 vcc_lo, exec_lo, s44
	s_cbranch_vccz .LBB10_857
; %bb.856:                              ;   in Loop: Header=BB10_855 Depth=3
	s_mov_b32 s46, -1
	s_or_b32 s42, s42, exec_lo
	s_and_saveexec_b32 s45, s44
	s_cbranch_execz .LBB10_854
	s_branch .LBB10_858
.LBB10_857:                             ;   in Loop: Header=BB10_855 Depth=3
	s_trap 2
	ds_load_b64 v[102:103], v0
	s_and_not1_b32 s44, s44, exec_lo
	s_mov_b32 s43, 0
	s_wait_loadcnt_dscnt 0x0
	flat_load_b32 v48, v[102:103] scope:SCOPE_SYS
	s_wait_loadcnt_dscnt 0x0
	global_inv scope:SCOPE_SYS
	v_cmp_eq_u32_e32 vcc_lo, 0, v48
	s_and_b32 s45, vcc_lo, exec_lo
	s_delay_alu instid0(SALU_CYCLE_1)
	s_or_b32 s44, s44, s45
	s_mov_b32 s46, -1
	s_or_b32 s42, s42, exec_lo
	s_and_saveexec_b32 s45, s44
	s_cbranch_execz .LBB10_854
.LBB10_858:                             ;   in Loop: Header=BB10_855 Depth=3
	s_sleep 1
	s_trap 2
	ds_load_b64 v[102:103], v0
	s_wait_dscnt 0x0
	s_and_not1_b32 s42, s42, exec_lo
	v_cmp_ge_u64_e32 vcc_lo, v[102:103], v[14:15]
	s_or_not1_b32 s46, vcc_lo, exec_lo
	s_branch .LBB10_854
.LBB10_859:                             ;   in Loop: Header=BB10_804 Depth=2
	s_or_b32 exec_lo, exec_lo, s40
	s_and_saveexec_b32 s40, s41
	s_delay_alu instid0(SALU_CYCLE_1)
	s_xor_b32 s40, exec_lo, s40
	s_cbranch_execz .LBB10_861
; %bb.860:                              ;   in Loop: Header=BB10_804 Depth=2
	ds_store_b32 v0, v60
	s_trap 2
.LBB10_861:                             ;   in Loop: Header=BB10_804 Depth=2
	s_or_b32 exec_lo, exec_lo, s29
	;;#ASMSTART
	s_wakeup
	;;#ASMEND
.LBB10_862:                             ;   in Loop: Header=BB10_804 Depth=2
	s_or_b32 exec_lo, exec_lo, s28
.LBB10_863:                             ;   in Loop: Header=BB10_804 Depth=2
	s_and_not1_saveexec_b32 s17, s17
	s_cbranch_execz .LBB10_865
; %bb.864:                              ;   in Loop: Header=BB10_804 Depth=2
	global_wb scope:SCOPE_DEV
	s_wait_storecnt 0x0
	s_wait_loadcnt_dscnt 0x0
	global_inv scope:SCOPE_DEV
	s_barrier_signal -1
	s_barrier_wait -1
.LBB10_865:                             ;   in Loop: Header=BB10_804 Depth=2
	s_or_b32 exec_lo, exec_lo, s17
.LBB10_866:                             ;   in Loop: Header=BB10_804 Depth=2
	s_delay_alu instid0(SALU_CYCLE_1) | instskip(SKIP_3) | instid1(VALU_DEP_1)
	s_or_b32 exec_lo, exec_lo, s12
	s_trap 2
	ds_load_b64 v[102:103], v0
	v_sub_nc_u32_e32 v48, v72, v2
	v_min_i32_e32 v73, v73, v48
	s_wait_dscnt 0x0
	v_cmp_eq_u64_e32 vcc_lo, 0, v[102:103]
	s_cbranch_vccnz .LBB10_874
; %bb.867:                              ;   in Loop: Header=BB10_804 Depth=2
	s_trap 2
	ds_load_b64 v[112:113], v0
	s_wait_dscnt 0x0
	v_cmp_eq_u64_e32 vcc_lo, 0, v[112:113]
	s_cbranch_vccnz .LBB10_874
; %bb.868:                              ;   in Loop: Header=BB10_804 Depth=2
	s_mov_b32 s12, -1
	s_and_saveexec_b32 s17, s11
	s_cbranch_execz .LBB10_870
; %bb.869:                              ;   in Loop: Header=BB10_804 Depth=2
	ds_load_b32 v48, v0 offset:720
	s_wait_dscnt 0x0
	v_and_b32_e32 v48, 15, v48
	s_delay_alu instid0(VALU_DEP_1)
	v_cmp_eq_u32_e32 vcc_lo, 0, v48
	s_or_not1_b32 s12, vcc_lo, exec_lo
.LBB10_870:                             ;   in Loop: Header=BB10_804 Depth=2
	s_or_b32 exec_lo, exec_lo, s17
	s_and_saveexec_b32 s17, s6
	s_cbranch_execz .LBB10_872
; %bb.871:                              ;   in Loop: Header=BB10_804 Depth=2
	ds_load_b32 v48, v0 offset:784
	s_wait_dscnt 0x0
	v_and_b32_e32 v48, 15, v48
	s_delay_alu instid0(VALU_DEP_1) | instskip(SKIP_3) | instid1(SALU_CYCLE_1)
	v_cmp_eq_u32_e32 vcc_lo, 0, v48
	s_and_b32 s28, s12, vcc_lo
	s_and_not1_b32 s12, s12, exec_lo
	s_and_b32 s28, s28, exec_lo
	s_or_b32 s12, s12, s28
.LBB10_872:                             ;   in Loop: Header=BB10_804 Depth=2
	s_or_b32 exec_lo, exec_lo, s17
	v_cmp_eq_u32_e32 vcc_lo, 0, v3
	s_xor_b32 s12, s12, -1
	v_mov_b32_e32 v114, v62
	v_cndmask_b32_e64 v48, 0, 1, s12
	s_mov_b32 s28, -1
	v_dual_cndmask_b32 v3, 0, v73, vcc_lo :: v_dual_mov_b32 v117, v0
	s_delay_alu instid0(VALU_DEP_2) | instskip(NEXT) | instid1(VALU_DEP_2)
	v_cmp_ne_u32_e32 vcc_lo, 0, v48
	v_dual_mov_b32 v48, 0 :: v_dual_mov_b32 v116, v3
	s_cbranch_vccz .LBB10_879
; %bb.873:                              ;   in Loop: Header=BB10_804 Depth=2
	s_and_saveexec_b32 s12, s28
	s_cbranch_execnz .LBB10_892
	s_branch .LBB10_900
.LBB10_874:                             ;   in Loop: Header=BB10_804 Depth=2
	s_mov_b32 s12, 0
	s_and_saveexec_b32 s17, s1
	s_cbranch_execnz .LBB10_901
.LBB10_875:                             ;   in Loop: Header=BB10_804 Depth=2
	s_or_b32 exec_lo, exec_lo, s17
	s_and_saveexec_b32 s17, s10
	s_delay_alu instid0(SALU_CYCLE_1)
	s_xor_b32 s17, exec_lo, s17
	s_cbranch_execz .LBB10_919
.LBB10_876:                             ;   in Loop: Header=BB10_804 Depth=2
	v_and_b32_e32 v3, 16, v30
	s_delay_alu instid0(VALU_DEP_1) | instskip(SKIP_1) | instid1(SALU_CYCLE_1)
	v_cmp_ne_u32_e32 vcc_lo, 0, v3
	s_and_b32 s28, vcc_lo, s12
	s_and_saveexec_b32 s12, s28
	s_cbranch_execz .LBB10_878
; %bb.877:                              ;   in Loop: Header=BB10_804 Depth=2
	global_wb scope:SCOPE_SYS
	s_wait_storecnt 0x0
	s_wait_loadcnt_dscnt 0x0
	global_inv scope:SCOPE_SYS
.LBB10_878:                             ;   in Loop: Header=BB10_804 Depth=2
	s_or_b32 exec_lo, exec_lo, s12
	s_and_not1_saveexec_b32 s12, s17
	s_cbranch_execz .LBB10_938
	s_branch .LBB10_920
.LBB10_879:                             ;   in Loop: Header=BB10_804 Depth=2
	v_ashrrev_i32_e32 v48, 31, v3
	s_mov_b32 s12, exec_lo
	s_delay_alu instid0(VALU_DEP_1) | instskip(NEXT) | instid1(VALU_DEP_1)
	v_lshrrev_b32_e32 v48, 21, v48
	v_add_nc_u32_e32 v48, v3, v48
	s_delay_alu instid0(VALU_DEP_1) | instskip(NEXT) | instid1(VALU_DEP_1)
	v_ashrrev_i32_e32 v48, 11, v48
	v_sub_nc_u32_e32 v119, v48, v62
	s_delay_alu instid0(VALU_DEP_1)
	v_cmpx_lt_i32_e32 0, v119
	s_cbranch_execz .LBB10_883
; %bb.880:                              ;   in Loop: Header=BB10_804 Depth=2
	v_mov_b64_e32 v[114:115], v[112:113]
	v_mov_b64_e32 v[116:117], v[102:103]
	s_mov_b32 s17, 0
.LBB10_881:                             ;   Parent Loop BB10_73 Depth=1
                                        ;     Parent Loop BB10_804 Depth=2
                                        ; =>    This Inner Loop Header: Depth=3
	s_delay_alu instid0(VALU_DEP_1)
	v_add_nc_u64_e32 v[56:57], v[98:99], v[116:117]
	v_sub_nc_u32_e32 v119, v119, v50
	v_add_nc_u64_e32 v[116:117], v[116:117], v[80:81]
	s_clause 0x3
	global_load_b128 v[40:43], v[56:57], off th:TH_LOAD_NT
	global_load_b128 v[44:47], v[56:57], off offset:512 th:TH_LOAD_NT
	global_load_b128 v[74:77], v[56:57], off offset:1024 th:TH_LOAD_NT
	;; [unrolled: 1-line block ×3, first 2 shown]
	s_wait_xcnt 0x0
	v_add_nc_u64_e32 v[56:57], v[98:99], v[114:115]
	v_cmp_gt_i32_e32 vcc_lo, 1, v119
	v_add_nc_u64_e32 v[114:115], v[114:115], v[80:81]
	s_wait_loadcnt 0x3
	global_store_b128 v[56:57], v[40:43], off th:TH_STORE_NT
	s_wait_loadcnt 0x2
	global_store_b128 v[56:57], v[44:47], off offset:512 th:TH_STORE_NT
	s_wait_loadcnt 0x1
	global_store_b128 v[56:57], v[74:77], off offset:1024 th:TH_STORE_NT
	;; [unrolled: 2-line block ×3, first 2 shown]
	s_or_b32 s17, vcc_lo, s17
	s_wait_xcnt 0x0
	s_and_not1_b32 exec_lo, exec_lo, s17
	s_cbranch_execnz .LBB10_881
; %bb.882:                              ;   in Loop: Header=BB10_804 Depth=2
	s_or_b32 exec_lo, exec_lo, s17
.LBB10_883:                             ;   in Loop: Header=BB10_804 Depth=2
	s_delay_alu instid0(SALU_CYCLE_1) | instskip(SKIP_3) | instid1(VALU_DEP_1)
	s_or_b32 exec_lo, exec_lo, s12
	v_dual_lshlrev_b32 v118, 11, v48 :: v_dual_mov_b32 v48, 0
	s_mov_b32 s28, 0
	s_mov_b32 s17, exec_lo
                                        ; implicit-def: $vgpr116
                                        ; implicit-def: $vgpr117
                                        ; implicit-def: $vgpr114
	v_cmpx_ne_u32_e64 v3, v118
	s_cbranch_execz .LBB10_891
; %bb.884:                              ;   in Loop: Header=BB10_804 Depth=2
	v_dual_lshlrev_b32 v48, 5, v119 :: v_dual_sub_nc_u32 v115, v3, v118
	s_mov_b32 s28, exec_lo
	s_delay_alu instid0(VALU_DEP_1) | instskip(NEXT) | instid1(VALU_DEP_1)
	v_dual_sub_nc_u32 v48, v63, v48 :: v_dual_ashrrev_i32 v116, 31, v115
	v_ashrrev_i32_e32 v114, 31, v48
	s_delay_alu instid0(VALU_DEP_1) | instskip(NEXT) | instid1(VALU_DEP_1)
	v_dual_lshrrev_b32 v116, 23, v116 :: v_dual_lshrrev_b32 v114, 27, v114
	v_add_nc_u32_e32 v114, v48, v114
	s_delay_alu instid0(VALU_DEP_1) | instskip(NEXT) | instid1(VALU_DEP_1)
	v_and_b32_e32 v117, 0xffffffe0, v114
	v_dual_add_nc_u32 v116, v115, v116 :: v_dual_sub_nc_u32 v40, v48, v117
	s_delay_alu instid0(VALU_DEP_1) | instskip(SKIP_1) | instid1(VALU_DEP_2)
	v_and_b32_e32 v119, 0xfffffe00, v116
	v_dual_ashrrev_i32 v117, 5, v114 :: v_dual_ashrrev_i32 v116, 9, v116
	v_dual_lshlrev_b32 v48, 4, v40 :: v_dual_sub_nc_u32 v41, v115, v119
	s_delay_alu instid0(VALU_DEP_1) | instskip(NEXT) | instid1(VALU_DEP_2)
	v_lshl_add_u32 v114, v117, 9, v48
	v_cmp_lt_i32_e32 vcc_lo, 15, v41
	s_delay_alu instid0(VALU_DEP_4) | instskip(NEXT) | instid1(VALU_DEP_1)
	v_add_co_ci_u32_e64 v116, null, 0, v116, vcc_lo
	v_dual_sub_nc_u32 v48, v115, v114 :: v_dual_sub_nc_u32 v42, v116, v117
	s_delay_alu instid0(VALU_DEP_1)
	v_cmpx_lt_i32_e32 15, v48
	s_cbranch_execz .LBB10_888
; %bb.885:                              ;   in Loop: Header=BB10_804 Depth=2
	v_add_nc_u32_e32 v114, v114, v118
	s_mov_b32 s29, 0
	s_delay_alu instid0(VALU_DEP_1)
	v_ashrrev_i32_e32 v115, 31, v114
.LBB10_886:                             ;   Parent Loop BB10_73 Depth=1
                                        ;     Parent Loop BB10_804 Depth=2
                                        ; =>    This Inner Loop Header: Depth=3
	s_delay_alu instid0(VALU_DEP_1) | instskip(SKIP_1) | instid1(VALU_DEP_1)
	v_add_nc_u64_e32 v[116:117], v[102:103], v[114:115]
	v_dual_sub_nc_u32 v48, v48, v68 :: v_dual_sub_nc_u32 v42, v42, v50
	v_cmp_gt_i32_e64 s12, 16, v48
	global_load_b128 v[44:47], v[116:117], off th:TH_LOAD_NT
	s_wait_xcnt 0x0
	v_add_nc_u64_e32 v[116:117], v[112:113], v[114:115]
	v_add_nc_u64_e32 v[114:115], v[114:115], v[96:97]
	s_or_b32 s29, s12, s29
	s_wait_loadcnt 0x0
	global_store_b128 v[116:117], v[44:47], off th:TH_STORE_NT
	s_wait_xcnt 0x0
	s_and_not1_b32 exec_lo, exec_lo, s29
	s_cbranch_execnz .LBB10_886
; %bb.887:                              ;   in Loop: Header=BB10_804 Depth=2
	s_or_b32 exec_lo, exec_lo, s29
.LBB10_888:                             ;   in Loop: Header=BB10_804 Depth=2
	s_delay_alu instid0(SALU_CYCLE_1) | instskip(SKIP_3) | instid1(VALU_DEP_1)
	s_or_b32 exec_lo, exec_lo, s28
	v_dual_mov_b32 v48, 0 :: v_dual_bitop2_b32 v115, 15, v3 bitop3:0x40
	s_mov_b32 s28, 0
	s_mov_b32 s29, exec_lo
                                        ; implicit-def: $vgpr117
                                        ; implicit-def: $vgpr114
	v_cndmask_b32_e32 v116, v41, v115, vcc_lo
	s_delay_alu instid0(VALU_DEP_1)
	v_cmpx_ne_u32_e32 0, v116
	s_cbranch_execz .LBB10_890
; %bb.889:                              ;   in Loop: Header=BB10_804 Depth=2
	v_cmp_lt_i32_e64 s12, 0, v42
	s_mov_b32 s28, exec_lo
	v_dual_sub_nc_u32 v114, v41, v115 :: v_dual_cndmask_b32 v48, 0, v50, s12
	s_delay_alu instid0(VALU_DEP_1) | instskip(NEXT) | instid1(VALU_DEP_2)
	v_cndmask_b32_e32 v114, 0, v114, vcc_lo
	v_sub_nc_u32_e32 v48, v48, v42
	s_delay_alu instid0(VALU_DEP_1) | instskip(NEXT) | instid1(VALU_DEP_1)
	v_lshl_add_u32 v117, v48, 5, v40
	v_ashrrev_i32_e32 v48, 31, v117
	s_delay_alu instid0(VALU_DEP_1) | instskip(NEXT) | instid1(VALU_DEP_1)
	v_lshrrev_b32_e32 v48, 27, v48
	v_add_nc_u32_e32 v115, v117, v48
	v_add3_u32 v48, v119, v118, v114
	s_delay_alu instid0(VALU_DEP_2)
	v_ashrrev_i32_e32 v114, 5, v115
.LBB10_890:                             ;   in Loop: Header=BB10_804 Depth=2
	s_or_b32 exec_lo, exec_lo, s29
	s_delay_alu instid0(SALU_CYCLE_1)
	s_and_b32 s28, s28, exec_lo
.LBB10_891:                             ;   in Loop: Header=BB10_804 Depth=2
	s_or_b32 exec_lo, exec_lo, s17
	s_and_saveexec_b32 s12, s28
	s_cbranch_execz .LBB10_900
.LBB10_892:                             ;   in Loop: Header=BB10_804 Depth=2
	v_ashrrev_i32_e32 v115, 31, v116
	s_mov_b32 s17, exec_lo
	s_delay_alu instid0(VALU_DEP_1) | instskip(NEXT) | instid1(VALU_DEP_1)
	v_lshrrev_b32_e32 v115, 23, v115
	v_add_nc_u32_e32 v115, v116, v115
	s_delay_alu instid0(VALU_DEP_1) | instskip(NEXT) | instid1(VALU_DEP_1)
	v_dual_ashrrev_i32 v40, 9, v115 :: v_dual_ashrrev_i32 v115, 31, v117
	v_dual_sub_nc_u32 v118, v40, v114 :: v_dual_lshrrev_b32 v119, 27, v115
	s_delay_alu instid0(VALU_DEP_1)
	v_cmpx_lt_i32_e32 0, v118
	s_cbranch_execz .LBB10_896
; %bb.893:                              ;   in Loop: Header=BB10_804 Depth=2
	s_delay_alu instid0(VALU_DEP_2) | instskip(SKIP_1) | instid1(VALU_DEP_1)
	v_dual_add_nc_u32 v115, v117, v119 :: v_dual_lshlrev_b32 v114, 9, v114
	s_mov_b32 s28, 0
	v_and_b32_e32 v115, 0xffffffe0, v115
	s_delay_alu instid0(VALU_DEP_1) | instskip(NEXT) | instid1(VALU_DEP_1)
	v_sub_nc_u32_e32 v115, v117, v115
	v_add3_u32 v114, v48, v115, v114
	s_delay_alu instid0(VALU_DEP_1)
	v_ashrrev_i32_e32 v115, 31, v114
.LBB10_894:                             ;   Parent Loop BB10_73 Depth=1
                                        ;     Parent Loop BB10_804 Depth=2
                                        ; =>    This Inner Loop Header: Depth=3
	s_delay_alu instid0(VALU_DEP_1)
	v_add_nc_u64_e32 v[42:43], v[114:115], v[102:103]
	v_sub_nc_u32_e32 v118, v118, v50
	v_add_nc_u64_e32 v[102:103], v[102:103], v[96:97]
	s_clause 0xf
	flat_load_u8 v41, v[42:43] th:TH_LOAD_NT
	flat_load_u8 v44, v[42:43] offset:32 th:TH_LOAD_NT
	flat_load_u8 v45, v[42:43] offset:64 th:TH_LOAD_NT
	;; [unrolled: 1-line block ×15, first 2 shown]
	s_wait_xcnt 0x0
	v_add_nc_u64_e32 v[42:43], v[114:115], v[112:113]
	v_add_nc_u64_e32 v[112:113], v[112:113], v[96:97]
	v_cmp_gt_i32_e32 vcc_lo, 1, v118
	s_wait_loadcnt_dscnt 0xf0f
	flat_store_b8 v[42:43], v41 th:TH_STORE_NT
	s_wait_loadcnt_dscnt 0xe0f
	flat_store_b8 v[42:43], v44 offset:32 th:TH_STORE_NT
	s_wait_loadcnt_dscnt 0xd0f
	flat_store_b8 v[42:43], v45 offset:64 th:TH_STORE_NT
	;; [unrolled: 2-line block ×15, first 2 shown]
	s_or_b32 s28, vcc_lo, s28
	s_wait_xcnt 0x0
	s_and_not1_b32 exec_lo, exec_lo, s28
	s_cbranch_execnz .LBB10_894
; %bb.895:                              ;   in Loop: Header=BB10_804 Depth=2
	s_or_b32 exec_lo, exec_lo, s28
.LBB10_896:                             ;   in Loop: Header=BB10_804 Depth=2
	s_delay_alu instid0(SALU_CYCLE_1) | instskip(SKIP_1) | instid1(VALU_DEP_1)
	s_or_b32 exec_lo, exec_lo, s17
	v_lshlrev_b32_e32 v102, 9, v40
	v_cmp_ne_u32_e32 vcc_lo, v116, v102
	s_and_b32 exec_lo, exec_lo, vcc_lo
	s_cbranch_execz .LBB10_900
; %bb.897:                              ;   in Loop: Header=BB10_804 Depth=2
	v_dual_add_nc_u32 v103, v117, v119 :: v_dual_lshlrev_b32 v112, 5, v118
	s_delay_alu instid0(VALU_DEP_1) | instskip(NEXT) | instid1(VALU_DEP_1)
	v_and_b32_e32 v103, 0xffffffe0, v103
	v_sub_nc_u32_e32 v103, v117, v103
	s_delay_alu instid0(VALU_DEP_1) | instskip(NEXT) | instid1(VALU_DEP_1)
	v_sub_nc_u32_e32 v103, v103, v112
	v_add_nc_u32_e32 v112, v102, v103
	s_delay_alu instid0(VALU_DEP_1) | instskip(NEXT) | instid1(VALU_DEP_1)
	v_sub_nc_u32_e32 v114, v116, v112
	v_cmp_lt_i32_e32 vcc_lo, 0, v114
	s_and_b32 exec_lo, exec_lo, vcc_lo
	s_cbranch_execz .LBB10_900
; %bb.898:                              ;   in Loop: Header=BB10_804 Depth=2
	s_trap 2
	ds_load_b64 v[102:103], v0
	v_add_nc_u32_e32 v112, v112, v48
	s_mov_b32 s17, 0
	s_delay_alu instid0(VALU_DEP_1)
	v_ashrrev_i32_e32 v113, 31, v112
.LBB10_899:                             ;   Parent Loop BB10_73 Depth=1
                                        ;     Parent Loop BB10_804 Depth=2
                                        ; =>    This Inner Loop Header: Depth=3
	s_wait_dscnt 0x0
	s_delay_alu instid0(VALU_DEP_1) | instskip(SKIP_2) | instid1(VALU_DEP_2)
	v_add_nc_u64_e32 v[116:117], v[102:103], v[112:113]
	v_sub_nc_u32_e32 v114, v114, v59
	v_add_nc_u64_e32 v[112:113], v[112:113], v[86:87]
	v_cmp_gt_i32_e32 vcc_lo, 1, v114
	flat_load_u8 v48, v[116:117] th:TH_LOAD_NT
	s_or_b32 s17, vcc_lo, s17
	s_wait_loadcnt_dscnt 0x0
	flat_store_b8 v[116:117], v48 th:TH_STORE_NT
	s_wait_xcnt 0x0
	s_and_not1_b32 exec_lo, exec_lo, s17
	s_cbranch_execnz .LBB10_899
.LBB10_900:                             ;   in Loop: Header=BB10_804 Depth=2
	s_or_b32 exec_lo, exec_lo, s12
	v_cmp_lt_i32_e64 s12, 0, v3
	s_and_saveexec_b32 s17, s1
	s_cbranch_execz .LBB10_875
.LBB10_901:                             ;   in Loop: Header=BB10_804 Depth=2
	s_and_saveexec_b32 s28, s2
	s_delay_alu instid0(SALU_CYCLE_1)
	s_xor_b32 s28, exec_lo, s28
	s_cbranch_execz .LBB10_916
; %bb.902:                              ;   in Loop: Header=BB10_804 Depth=2
	s_and_saveexec_b32 s29, s5
	s_cbranch_execz .LBB10_915
; %bb.903:                              ;   in Loop: Header=BB10_804 Depth=2
	s_mov_b32 s41, exec_lo
	s_mov_b32 s40, exec_lo
	v_mbcnt_lo_u32_b32 v3, s41, 0
	global_wb scope:SCOPE_DEV
	s_wait_storecnt 0x0
	s_wait_loadcnt_dscnt 0x0
	global_inv scope:SCOPE_DEV
	v_cmpx_eq_u32_e32 0, v3
	s_cbranch_execz .LBB10_905
; %bb.904:                              ;   in Loop: Header=BB10_804 Depth=2
	s_bcnt1_i32_b32 s41, s41
	s_delay_alu instid0(SALU_CYCLE_1)
	v_mov_b32_e32 v48, s41
	s_wait_loadcnt 0x0
	ds_add_u64 v0, v[48:49]
	s_trap 2
.LBB10_905:                             ;   in Loop: Header=BB10_804 Depth=2
	s_or_b32 exec_lo, exec_lo, s40
	s_trap 2
	ds_load_b64 v[102:103], v0
	s_wait_dscnt 0x0
	v_add_nc_u64_e32 v[14:15], v[14:15], v[50:51]
	s_mov_b32 s40, exec_lo
	s_delay_alu instid0(VALU_DEP_1)
	v_cmpx_lt_u64_e64 v[102:103], v[14:15]
	s_cbranch_execz .LBB10_914
; %bb.906:                              ;   in Loop: Header=BB10_804 Depth=2
	s_mov_b32 s41, 0
	s_mov_b32 s44, 0
                                        ; implicit-def: $sgpr42
                                        ; implicit-def: $sgpr43
	s_branch .LBB10_908
.LBB10_907:                             ;   in Loop: Header=BB10_908 Depth=3
	s_or_b32 exec_lo, exec_lo, s46
	s_delay_alu instid0(SALU_CYCLE_1) | instskip(NEXT) | instid1(SALU_CYCLE_1)
	s_and_b32 s45, exec_lo, s47
	s_or_b32 s41, s45, s41
	s_and_not1_b32 s42, s42, exec_lo
	s_and_b32 s45, s43, exec_lo
	s_delay_alu instid0(SALU_CYCLE_1)
	s_or_b32 s42, s42, s45
	s_and_not1_b32 exec_lo, exec_lo, s41
	s_cbranch_execz .LBB10_912
.LBB10_908:                             ;   Parent Loop BB10_73 Depth=1
                                        ;     Parent Loop BB10_804 Depth=2
                                        ; =>    This Inner Loop Header: Depth=3
	s_add_co_i32 s44, s44, 1
	s_delay_alu instid0(SALU_CYCLE_1) | instskip(SKIP_1) | instid1(SALU_CYCLE_1)
	s_cmp_lg_u32 s44, 0x2710
	s_cselect_b32 s45, -1, 0
	s_and_b32 vcc_lo, exec_lo, s45
	s_cbranch_vccz .LBB10_910
; %bb.909:                              ;   in Loop: Header=BB10_908 Depth=3
	s_mov_b32 s47, -1
	s_or_b32 s43, s43, exec_lo
	s_and_saveexec_b32 s46, s45
	s_cbranch_execz .LBB10_907
	s_branch .LBB10_911
.LBB10_910:                             ;   in Loop: Header=BB10_908 Depth=3
	s_trap 2
	ds_load_b64 v[102:103], v0
	s_and_not1_b32 s45, s45, exec_lo
	s_mov_b32 s44, 0
	s_wait_loadcnt_dscnt 0x0
	flat_load_b32 v3, v[102:103] scope:SCOPE_SYS
	s_wait_loadcnt_dscnt 0x0
	global_inv scope:SCOPE_SYS
	v_cmp_eq_u32_e32 vcc_lo, 0, v3
	s_and_b32 s46, vcc_lo, exec_lo
	s_delay_alu instid0(SALU_CYCLE_1)
	s_or_b32 s45, s45, s46
	s_mov_b32 s47, -1
	s_or_b32 s43, s43, exec_lo
	s_and_saveexec_b32 s46, s45
	s_cbranch_execz .LBB10_907
.LBB10_911:                             ;   in Loop: Header=BB10_908 Depth=3
	s_sleep 1
	s_trap 2
	ds_load_b64 v[102:103], v0
	s_wait_dscnt 0x0
	s_and_not1_b32 s43, s43, exec_lo
	v_cmp_ge_u64_e32 vcc_lo, v[102:103], v[14:15]
	s_or_not1_b32 s47, vcc_lo, exec_lo
	s_branch .LBB10_907
.LBB10_912:                             ;   in Loop: Header=BB10_804 Depth=2
	s_or_b32 exec_lo, exec_lo, s41
	s_and_saveexec_b32 s41, s42
	s_delay_alu instid0(SALU_CYCLE_1)
	s_xor_b32 s41, exec_lo, s41
	s_cbranch_execz .LBB10_914
; %bb.913:                              ;   in Loop: Header=BB10_804 Depth=2
	ds_store_b32 v0, v60
	s_trap 2
.LBB10_914:                             ;   in Loop: Header=BB10_804 Depth=2
	s_or_b32 exec_lo, exec_lo, s40
	;;#ASMSTART
	s_wakeup
	;;#ASMEND
.LBB10_915:                             ;   in Loop: Header=BB10_804 Depth=2
	s_or_b32 exec_lo, exec_lo, s29
.LBB10_916:                             ;   in Loop: Header=BB10_804 Depth=2
	s_and_not1_saveexec_b32 s28, s28
	s_cbranch_execz .LBB10_918
; %bb.917:                              ;   in Loop: Header=BB10_804 Depth=2
	global_wb scope:SCOPE_DEV
	s_wait_storecnt 0x0
	s_wait_loadcnt_dscnt 0x0
	global_inv scope:SCOPE_DEV
	s_barrier_signal -1
	s_barrier_wait -1
.LBB10_918:                             ;   in Loop: Header=BB10_804 Depth=2
	s_or_b32 exec_lo, exec_lo, s28
	s_delay_alu instid0(SALU_CYCLE_1) | instskip(SKIP_1) | instid1(SALU_CYCLE_1)
	s_or_b32 exec_lo, exec_lo, s17
	s_and_saveexec_b32 s17, s10
	s_xor_b32 s17, exec_lo, s17
	s_cbranch_execnz .LBB10_876
.LBB10_919:                             ;   in Loop: Header=BB10_804 Depth=2
	s_and_not1_saveexec_b32 s12, s17
	s_cbranch_execz .LBB10_938
.LBB10_920:                             ;   in Loop: Header=BB10_804 Depth=2
	s_and_saveexec_b32 s17, s2
	s_delay_alu instid0(SALU_CYCLE_1)
	s_xor_b32 s17, exec_lo, s17
	s_cbranch_execz .LBB10_935
; %bb.921:                              ;   in Loop: Header=BB10_804 Depth=2
	s_and_saveexec_b32 s28, s5
	s_cbranch_execz .LBB10_934
; %bb.922:                              ;   in Loop: Header=BB10_804 Depth=2
	s_mov_b32 s40, exec_lo
	s_mov_b32 s29, exec_lo
	v_mbcnt_lo_u32_b32 v3, s40, 0
	;;#ASMSTART
	s_waitcnt lgkmcnt(0) vmcnt(0)
	;;#ASMEND
	s_delay_alu instid0(VALU_DEP_1)
	v_cmpx_eq_u32_e32 0, v3
	s_cbranch_execz .LBB10_924
; %bb.923:                              ;   in Loop: Header=BB10_804 Depth=2
	s_bcnt1_i32_b32 s40, s40
	s_delay_alu instid0(SALU_CYCLE_1)
	v_mov_b32_e32 v48, s40
	s_wait_storecnt 0x0
	s_wait_loadcnt_dscnt 0x0
	ds_add_u64 v0, v[48:49]
	s_trap 2
.LBB10_924:                             ;   in Loop: Header=BB10_804 Depth=2
	s_or_b32 exec_lo, exec_lo, s29
	s_trap 2
	ds_load_b64 v[102:103], v0
	s_wait_dscnt 0x0
	v_add_nc_u64_e32 v[14:15], v[14:15], v[50:51]
	s_mov_b32 s29, exec_lo
	s_delay_alu instid0(VALU_DEP_1)
	v_cmpx_lt_u64_e64 v[102:103], v[14:15]
	s_cbranch_execz .LBB10_933
; %bb.925:                              ;   in Loop: Header=BB10_804 Depth=2
	s_mov_b32 s40, 0
	s_mov_b32 s43, 0
                                        ; implicit-def: $sgpr41
                                        ; implicit-def: $sgpr42
	s_branch .LBB10_927
.LBB10_926:                             ;   in Loop: Header=BB10_927 Depth=3
	s_or_b32 exec_lo, exec_lo, s45
	s_delay_alu instid0(SALU_CYCLE_1) | instskip(NEXT) | instid1(SALU_CYCLE_1)
	s_and_b32 s44, exec_lo, s46
	s_or_b32 s40, s44, s40
	s_and_not1_b32 s41, s41, exec_lo
	s_and_b32 s44, s42, exec_lo
	s_delay_alu instid0(SALU_CYCLE_1)
	s_or_b32 s41, s41, s44
	s_and_not1_b32 exec_lo, exec_lo, s40
	s_cbranch_execz .LBB10_931
.LBB10_927:                             ;   Parent Loop BB10_73 Depth=1
                                        ;     Parent Loop BB10_804 Depth=2
                                        ; =>    This Inner Loop Header: Depth=3
	s_add_co_i32 s43, s43, 1
	s_delay_alu instid0(SALU_CYCLE_1) | instskip(SKIP_1) | instid1(SALU_CYCLE_1)
	s_cmp_lg_u32 s43, 0x2710
	s_cselect_b32 s44, -1, 0
	s_and_b32 vcc_lo, exec_lo, s44
	s_cbranch_vccz .LBB10_929
; %bb.928:                              ;   in Loop: Header=BB10_927 Depth=3
	s_mov_b32 s46, -1
	s_or_b32 s42, s42, exec_lo
	s_and_saveexec_b32 s45, s44
	s_cbranch_execz .LBB10_926
	s_branch .LBB10_930
.LBB10_929:                             ;   in Loop: Header=BB10_927 Depth=3
	s_trap 2
	ds_load_b64 v[102:103], v0
	s_and_not1_b32 s44, s44, exec_lo
	s_mov_b32 s43, 0
	s_wait_storecnt 0x0
	s_wait_loadcnt_dscnt 0x0
	flat_load_b32 v3, v[102:103] scope:SCOPE_SYS
	s_wait_loadcnt_dscnt 0x0
	global_inv scope:SCOPE_SYS
	v_cmp_eq_u32_e32 vcc_lo, 0, v3
	s_and_b32 s45, vcc_lo, exec_lo
	s_delay_alu instid0(SALU_CYCLE_1)
	s_or_b32 s44, s44, s45
	s_mov_b32 s46, -1
	s_or_b32 s42, s42, exec_lo
	s_and_saveexec_b32 s45, s44
	s_cbranch_execz .LBB10_926
.LBB10_930:                             ;   in Loop: Header=BB10_927 Depth=3
	s_sleep 1
	s_trap 2
	ds_load_b64 v[102:103], v0
	s_wait_dscnt 0x0
	s_and_not1_b32 s42, s42, exec_lo
	v_cmp_ge_u64_e32 vcc_lo, v[102:103], v[14:15]
	s_or_not1_b32 s46, vcc_lo, exec_lo
	s_branch .LBB10_926
.LBB10_931:                             ;   in Loop: Header=BB10_804 Depth=2
	s_or_b32 exec_lo, exec_lo, s40
	s_and_saveexec_b32 s40, s41
	s_delay_alu instid0(SALU_CYCLE_1)
	s_xor_b32 s40, exec_lo, s40
	s_cbranch_execz .LBB10_933
; %bb.932:                              ;   in Loop: Header=BB10_804 Depth=2
	ds_store_b32 v0, v60
	s_trap 2
.LBB10_933:                             ;   in Loop: Header=BB10_804 Depth=2
	s_or_b32 exec_lo, exec_lo, s29
	;;#ASMSTART
	s_wakeup
	;;#ASMEND
.LBB10_934:                             ;   in Loop: Header=BB10_804 Depth=2
	s_or_b32 exec_lo, exec_lo, s28
.LBB10_935:                             ;   in Loop: Header=BB10_804 Depth=2
	s_and_not1_saveexec_b32 s17, s17
	s_cbranch_execz .LBB10_937
; %bb.936:                              ;   in Loop: Header=BB10_804 Depth=2
	;;#ASMSTART
	s_waitcnt lgkmcnt(0) vmcnt(0)
	;;#ASMEND
	s_barrier_signal -1
	s_barrier_wait -1
.LBB10_937:                             ;   in Loop: Header=BB10_804 Depth=2
	s_or_b32 exec_lo, exec_lo, s17
.LBB10_938:                             ;   in Loop: Header=BB10_804 Depth=2
	s_delay_alu instid0(SALU_CYCLE_1) | instskip(SKIP_2) | instid1(VALU_DEP_1)
	s_or_b32 exec_lo, exec_lo, s12
	v_and_b32_e32 v3, 32, v30
	s_mov_b32 s12, exec_lo
	v_cmpx_ne_u32_e32 0, v3
	s_cbranch_execz .LBB10_803
; %bb.939:                              ;   in Loop: Header=BB10_804 Depth=2
	v_add_nc_u64_e32 v[100:101], 2, v[100:101]
	global_wb scope:SCOPE_SYS
	s_wait_storecnt 0x0
	s_wait_loadcnt_dscnt 0x0
	flat_store_b64 v[26:27], v[100:101] scope:SCOPE_SYS
	s_branch .LBB10_803
.LBB10_940:                             ;   in Loop: Header=BB10_73 Depth=1
	s_or_b32 exec_lo, exec_lo, s14
.LBB10_941:                             ;   in Loop: Header=BB10_73 Depth=1
	s_delay_alu instid0(SALU_CYCLE_1) | instskip(NEXT) | instid1(SALU_CYCLE_1)
	s_or_b32 exec_lo, exec_lo, s13
	s_mov_b32 s13, exec_lo
	v_cmpx_gt_i32_e32 2, v3
	s_cbranch_execz .LBB10_72
; %bb.942:                              ;   in Loop: Header=BB10_73 Depth=1
	v_cmp_eq_u32_e64 s15, 0, v3
	s_mov_b32 s14, 0
	s_branch .LBB10_944
.LBB10_943:                             ;   in Loop: Header=BB10_944 Depth=2
	s_wait_xcnt 0x0
	s_or_b32 exec_lo, exec_lo, s12
	v_add_nc_u32_e32 v2, v73, v2
	s_mov_b32 s15, 0
	s_and_not1_b32 exec_lo, exec_lo, s14
	s_cbranch_execz .LBB10_71
.LBB10_944:                             ;   Parent Loop BB10_73 Depth=1
                                        ; =>  This Loop Header: Depth=2
                                        ;       Child Loop BB10_950 Depth 3
                                        ;       Child Loop BB10_974 Depth 3
	;; [unrolled: 1-line block ×3, first 2 shown]
	v_and_b32_e32 v3, 4, v30
	s_mov_b32 s16, exec_lo
	s_delay_alu instid0(VALU_DEP_1)
	v_cmpx_ne_u32_e32 0, v3
	s_cbranch_execz .LBB10_966
; %bb.945:                              ;   in Loop: Header=BB10_944 Depth=2
	v_add_nc_u64_e32 v[4:5], 2, v[100:101]
	s_mov_b32 s17, exec_lo
	s_wait_loadcnt_dscnt 0x1
	s_delay_alu instid0(VALU_DEP_1)
	v_cmpx_lt_u64_e64 v[36:37], v[4:5]
	s_cbranch_execz .LBB10_957
; %bb.946:                              ;   in Loop: Header=BB10_944 Depth=2
	v_and_b32_e32 v3, 64, v30
	s_mov_b32 s28, 0
	s_mov_b32 s42, 0
                                        ; implicit-def: $sgpr29
                                        ; implicit-def: $sgpr40
                                        ; implicit-def: $sgpr41
	s_delay_alu instid0(VALU_DEP_1)
	v_cmp_eq_u32_e32 vcc_lo, 0, v3
	s_branch .LBB10_950
.LBB10_947:                             ;   in Loop: Header=BB10_950 Depth=3
	s_wait_loadcnt_dscnt 0x0
	v_cmp_ge_u64_e64 s12, v[36:37], v[4:5]
	s_or_b32 s45, s45, exec_lo
	s_or_not1_b32 s44, s12, exec_lo
.LBB10_948:                             ;   in Loop: Header=BB10_950 Depth=3
	s_or_b32 exec_lo, exec_lo, s47
	s_delay_alu instid0(SALU_CYCLE_1)
	s_and_not1_b32 s12, s41, exec_lo
	s_and_b32 s41, s45, exec_lo
	s_and_not1_b32 s40, s40, exec_lo
	s_and_b32 s44, s44, exec_lo
	s_or_b32 s41, s12, s41
	s_or_b32 s40, s40, s44
.LBB10_949:                             ;   in Loop: Header=BB10_950 Depth=3
	s_or_b32 exec_lo, exec_lo, s43
	s_delay_alu instid0(SALU_CYCLE_1) | instskip(NEXT) | instid1(SALU_CYCLE_1)
	s_and_b32 s12, exec_lo, s40
	s_or_b32 s28, s12, s28
	s_and_not1_b32 s12, s29, exec_lo
	s_and_b32 s29, s41, exec_lo
	s_delay_alu instid0(SALU_CYCLE_1)
	s_or_b32 s29, s12, s29
	s_and_not1_b32 exec_lo, exec_lo, s28
	s_cbranch_execz .LBB10_954
.LBB10_950:                             ;   Parent Loop BB10_73 Depth=1
                                        ;     Parent Loop BB10_944 Depth=2
                                        ; =>    This Inner Loop Header: Depth=3
	s_sleep 1
	s_wait_loadcnt_dscnt 0x0
	flat_load_b64 v[36:37], v[26:27] scope:SCOPE_SYS
	s_or_b32 s41, s41, exec_lo
	s_or_b32 s40, s40, exec_lo
                                        ; implicit-def: $vgpr3
	s_wait_xcnt 0x0
	s_and_saveexec_b32 s43, vcc_lo
	s_cbranch_execz .LBB10_949
; %bb.951:                              ;   in Loop: Header=BB10_950 Depth=3
	s_cmp_lt_i32 s42, 0x270f
	s_mov_b32 s44, -1
	s_cselect_b32 s46, -1, 0
	s_cmp_gt_i32 s42, 0x270e
	s_cbranch_scc0 .LBB10_953
; %bb.952:                              ;   in Loop: Header=BB10_950 Depth=3
	s_trap 2
	ds_load_b64 v[102:103], v0
	s_and_not1_b32 s42, s46, exec_lo
	s_mov_b32 s45, 0
	s_wait_storecnt 0x0
	s_wait_loadcnt_dscnt 0x0
	flat_load_b32 v3, v[102:103] scope:SCOPE_SYS
	s_wait_loadcnt_dscnt 0x0
	global_inv scope:SCOPE_SYS
	v_cmp_eq_u32_e64 s12, 0, v3
	s_and_b32 s12, s12, exec_lo
	s_delay_alu instid0(SALU_CYCLE_1)
	s_or_b32 s46, s42, s12
	s_mov_b32 s42, 0
	s_and_saveexec_b32 s47, s46
	s_cbranch_execz .LBB10_948
	s_branch .LBB10_947
.LBB10_953:                             ;   in Loop: Header=BB10_950 Depth=3
	s_add_co_i32 s42, s42, 1
	s_mov_b32 s45, -1
                                        ; implicit-def: $vgpr3
	s_and_saveexec_b32 s47, s46
	s_cbranch_execz .LBB10_948
	s_branch .LBB10_947
.LBB10_954:                             ;   in Loop: Header=BB10_944 Depth=2
	s_or_b32 exec_lo, exec_lo, s28
	s_xor_b32 s12, s29, -1
	s_delay_alu instid0(SALU_CYCLE_1) | instskip(NEXT) | instid1(SALU_CYCLE_1)
	s_and_saveexec_b32 s28, s12
	s_xor_b32 s12, exec_lo, s28
	s_cbranch_execz .LBB10_956
; %bb.955:                              ;   in Loop: Header=BB10_944 Depth=2
	v_or_b32_e32 v30, 64, v30
	s_wait_storecnt 0x0
	s_wait_loadcnt_dscnt 0x0
	ds_store_b32 v0, v3
	s_trap 2
.LBB10_956:                             ;   in Loop: Header=BB10_944 Depth=2
	s_or_b32 exec_lo, exec_lo, s12
.LBB10_957:                             ;   in Loop: Header=BB10_944 Depth=2
	s_delay_alu instid0(SALU_CYCLE_1)
	s_or_b32 exec_lo, exec_lo, s17
	v_and_b32_e32 v3, 0x100, v30
	v_and_b32_e32 v48, 7, v100
	s_mov_b32 s12, -1
	s_mov_b32 s17, exec_lo
	;;#ASMSTART
	s_wakeup
	;;#ASMEND
                                        ; implicit-def: $vgpr100_vgpr101
	v_cmpx_ne_u32_e32 0, v3
	s_cbranch_execz .LBB10_961
; %bb.958:                              ;   in Loop: Header=BB10_944 Depth=2
	v_mad_nc_u64_u32 v[102:103], v48, 24, v[12:13]
	s_mov_b32 s28, exec_lo
                                        ; implicit-def: $vgpr100_vgpr101
	flat_load_b32 v3, v[102:103]
	s_wait_loadcnt_dscnt 0x0
	v_cmp_ne_u32_e32 vcc_lo, 1, v3
	s_wait_xcnt 0x0
	v_cmpx_eq_u32_e32 1, v3
	s_cbranch_execz .LBB10_960
; %bb.959:                              ;   in Loop: Header=BB10_944 Depth=2
	flat_load_b32 v100, v[102:103] offset:4 scope:SCOPE_SYS
	s_wait_loadcnt_dscnt 0x0
	v_ashrrev_i32_e32 v101, 31, v100
.LBB10_960:                             ;   in Loop: Header=BB10_944 Depth=2
	s_wait_xcnt 0x0
	s_or_b32 exec_lo, exec_lo, s28
	s_delay_alu instid0(SALU_CYCLE_1)
	s_or_not1_b32 s12, vcc_lo, exec_lo
.LBB10_961:                             ;   in Loop: Header=BB10_944 Depth=2
	s_or_b32 exec_lo, exec_lo, s17
	s_and_saveexec_b32 s17, s12
; %bb.962:                              ;   in Loop: Header=BB10_944 Depth=2
	v_mul_u64_e32 v[100:101], v[48:49], v[28:29]
; %bb.963:                              ;   in Loop: Header=BB10_944 Depth=2
	s_or_b32 exec_lo, exec_lo, s17
	s_delay_alu instid0(VALU_DEP_1)
	v_add_nc_u64_e32 v[100:101], v[32:33], v[100:101]
	v_and_b32_e32 v3, 0x2000, v30
	s_mov_b32 s12, exec_lo
	ds_store_b64 v0, v[100:101] offset:720
	v_cmpx_ne_u32_e32 0, v3
	s_cbranch_execz .LBB10_965
; %bb.964:                              ;   in Loop: Header=BB10_944 Depth=2
	ds_load_b64 v[100:101], v0 offset:872
	s_wait_dscnt 0x0
	v_add_nc_u64_e32 v[100:101], 1, v[100:101]
	ds_store_b64 v0, v[100:101] offset:872
.LBB10_965:                             ;   in Loop: Header=BB10_944 Depth=2
	s_or_b32 exec_lo, exec_lo, s12
	v_mov_b64_e32 v[100:101], v[4:5]
.LBB10_966:                             ;   in Loop: Header=BB10_944 Depth=2
	s_or_b32 exec_lo, exec_lo, s16
	s_xor_b32 s12, s15, -1
	s_delay_alu instid0(SALU_CYCLE_1) | instskip(NEXT) | instid1(SALU_CYCLE_1)
	s_and_b32 s12, exec_lo, s12
	s_or_b32 s14, s12, s14
	s_and_saveexec_b32 s12, s1
	s_cbranch_execz .LBB10_985
; %bb.967:                              ;   in Loop: Header=BB10_944 Depth=2
	s_and_saveexec_b32 s15, s2
	s_delay_alu instid0(SALU_CYCLE_1)
	s_xor_b32 s15, exec_lo, s15
	s_cbranch_execz .LBB10_982
; %bb.968:                              ;   in Loop: Header=BB10_944 Depth=2
	s_and_saveexec_b32 s16, s5
	s_cbranch_execz .LBB10_981
; %bb.969:                              ;   in Loop: Header=BB10_944 Depth=2
	s_mov_b32 s28, exec_lo
	s_mov_b32 s17, exec_lo
	v_mbcnt_lo_u32_b32 v3, s28, 0
	global_wb scope:SCOPE_DEV
	s_wait_storecnt 0x0
	s_wait_loadcnt_dscnt 0x0
	global_inv scope:SCOPE_DEV
	v_cmpx_eq_u32_e32 0, v3
	s_cbranch_execz .LBB10_971
; %bb.970:                              ;   in Loop: Header=BB10_944 Depth=2
	s_bcnt1_i32_b32 s28, s28
	s_delay_alu instid0(SALU_CYCLE_1)
	v_mov_b32_e32 v48, s28
	s_wait_loadcnt 0x0
	ds_add_u64 v0, v[48:49]
	s_trap 2
.LBB10_971:                             ;   in Loop: Header=BB10_944 Depth=2
	s_or_b32 exec_lo, exec_lo, s17
	s_trap 2
	ds_load_b64 v[4:5], v0
	s_wait_dscnt 0x0
	v_add_nc_u64_e32 v[14:15], v[14:15], v[50:51]
	s_mov_b32 s17, exec_lo
	s_delay_alu instid0(VALU_DEP_1)
	v_cmpx_lt_u64_e64 v[4:5], v[14:15]
	s_cbranch_execz .LBB10_980
; %bb.972:                              ;   in Loop: Header=BB10_944 Depth=2
	s_mov_b32 s28, 0
	s_mov_b32 s41, 0
                                        ; implicit-def: $sgpr29
                                        ; implicit-def: $sgpr40
	s_branch .LBB10_974
.LBB10_973:                             ;   in Loop: Header=BB10_974 Depth=3
	s_or_b32 exec_lo, exec_lo, s43
	s_delay_alu instid0(SALU_CYCLE_1) | instskip(NEXT) | instid1(SALU_CYCLE_1)
	s_and_b32 s42, exec_lo, s44
	s_or_b32 s28, s42, s28
	s_and_not1_b32 s29, s29, exec_lo
	s_and_b32 s42, s40, exec_lo
	s_delay_alu instid0(SALU_CYCLE_1)
	s_or_b32 s29, s29, s42
	s_and_not1_b32 exec_lo, exec_lo, s28
	s_cbranch_execz .LBB10_978
.LBB10_974:                             ;   Parent Loop BB10_73 Depth=1
                                        ;     Parent Loop BB10_944 Depth=2
                                        ; =>    This Inner Loop Header: Depth=3
	s_add_co_i32 s41, s41, 1
	s_delay_alu instid0(SALU_CYCLE_1) | instskip(SKIP_1) | instid1(SALU_CYCLE_1)
	s_cmp_lg_u32 s41, 0x2710
	s_cselect_b32 s42, -1, 0
	s_and_b32 vcc_lo, exec_lo, s42
	s_cbranch_vccz .LBB10_976
; %bb.975:                              ;   in Loop: Header=BB10_974 Depth=3
	s_mov_b32 s44, -1
	s_or_b32 s40, s40, exec_lo
	s_and_saveexec_b32 s43, s42
	s_cbranch_execz .LBB10_973
	s_branch .LBB10_977
.LBB10_976:                             ;   in Loop: Header=BB10_974 Depth=3
	s_trap 2
	ds_load_b64 v[4:5], v0
	s_and_not1_b32 s42, s42, exec_lo
	s_mov_b32 s41, 0
	s_wait_loadcnt_dscnt 0x0
	flat_load_b32 v3, v[4:5] scope:SCOPE_SYS
	s_wait_loadcnt_dscnt 0x0
	global_inv scope:SCOPE_SYS
	v_cmp_eq_u32_e32 vcc_lo, 0, v3
	s_and_b32 s43, vcc_lo, exec_lo
	s_delay_alu instid0(SALU_CYCLE_1)
	s_or_b32 s42, s42, s43
	s_mov_b32 s44, -1
	s_or_b32 s40, s40, exec_lo
	s_and_saveexec_b32 s43, s42
	s_cbranch_execz .LBB10_973
.LBB10_977:                             ;   in Loop: Header=BB10_974 Depth=3
	s_sleep 1
	s_trap 2
	ds_load_b64 v[4:5], v0
	s_wait_dscnt 0x0
	s_and_not1_b32 s40, s40, exec_lo
	v_cmp_ge_u64_e32 vcc_lo, v[4:5], v[14:15]
	s_or_not1_b32 s44, vcc_lo, exec_lo
	s_branch .LBB10_973
.LBB10_978:                             ;   in Loop: Header=BB10_944 Depth=2
	s_or_b32 exec_lo, exec_lo, s28
	s_and_saveexec_b32 s28, s29
	s_delay_alu instid0(SALU_CYCLE_1)
	s_xor_b32 s28, exec_lo, s28
	s_cbranch_execz .LBB10_980
; %bb.979:                              ;   in Loop: Header=BB10_944 Depth=2
	ds_store_b32 v0, v60
	s_trap 2
.LBB10_980:                             ;   in Loop: Header=BB10_944 Depth=2
	s_or_b32 exec_lo, exec_lo, s17
	;;#ASMSTART
	s_wakeup
	;;#ASMEND
.LBB10_981:                             ;   in Loop: Header=BB10_944 Depth=2
	s_or_b32 exec_lo, exec_lo, s16
.LBB10_982:                             ;   in Loop: Header=BB10_944 Depth=2
	s_and_not1_saveexec_b32 s15, s15
	s_cbranch_execz .LBB10_984
; %bb.983:                              ;   in Loop: Header=BB10_944 Depth=2
	global_wb scope:SCOPE_DEV
	s_wait_storecnt 0x0
	s_wait_loadcnt_dscnt 0x0
	global_inv scope:SCOPE_DEV
	s_barrier_signal -1
	s_barrier_wait -1
.LBB10_984:                             ;   in Loop: Header=BB10_944 Depth=2
	s_or_b32 exec_lo, exec_lo, s15
.LBB10_985:                             ;   in Loop: Header=BB10_944 Depth=2
	s_delay_alu instid0(SALU_CYCLE_1) | instskip(SKIP_1) | instid1(VALU_DEP_1)
	s_or_b32 exec_lo, exec_lo, s12
	v_sub_nc_u32_e32 v3, v72, v2
	v_min_i32_e32 v73, v73, v3
	s_and_saveexec_b32 s12, s10
	s_delay_alu instid0(SALU_CYCLE_1)
	s_xor_b32 s15, exec_lo, s12
	s_cbranch_execz .LBB10_989
; %bb.986:                              ;   in Loop: Header=BB10_944 Depth=2
	s_trap 2
	ds_load_b32 v3, v0
	v_cmp_lt_i32_e32 vcc_lo, 0, v73
	s_wait_dscnt 0x0
	v_readfirstlane_b32 s12, v3
	v_and_b32_e32 v3, 16, v30
	s_cmp_eq_u32 s12, 0
	s_delay_alu instid0(VALU_DEP_1) | instskip(SKIP_1) | instid1(SALU_CYCLE_1)
	v_cmp_ne_u32_e64 s12, 0, v3
	s_cselect_b32 s16, -1, 0
	s_and_b32 s16, vcc_lo, s16
	s_delay_alu instid0(SALU_CYCLE_1) | instskip(NEXT) | instid1(SALU_CYCLE_1)
	s_and_b32 s16, s12, s16
	s_and_saveexec_b32 s12, s16
	s_cbranch_execz .LBB10_988
; %bb.987:                              ;   in Loop: Header=BB10_944 Depth=2
	global_wb scope:SCOPE_SYS
	s_wait_loadcnt 0x0
	s_wait_storecnt 0x0
	global_inv scope:SCOPE_SYS
.LBB10_988:                             ;   in Loop: Header=BB10_944 Depth=2
	s_or_b32 exec_lo, exec_lo, s12
.LBB10_989:                             ;   in Loop: Header=BB10_944 Depth=2
	s_and_not1_saveexec_b32 s12, s15
	s_cbranch_execz .LBB10_1008
; %bb.990:                              ;   in Loop: Header=BB10_944 Depth=2
	s_and_saveexec_b32 s15, s2
	s_delay_alu instid0(SALU_CYCLE_1)
	s_xor_b32 s15, exec_lo, s15
	s_cbranch_execz .LBB10_1005
; %bb.991:                              ;   in Loop: Header=BB10_944 Depth=2
	s_and_saveexec_b32 s16, s5
	s_cbranch_execz .LBB10_1004
; %bb.992:                              ;   in Loop: Header=BB10_944 Depth=2
	s_mov_b32 s28, exec_lo
	s_mov_b32 s17, exec_lo
	v_mbcnt_lo_u32_b32 v3, s28, 0
	;;#ASMSTART
	s_waitcnt lgkmcnt(0) vmcnt(0)
	;;#ASMEND
	s_delay_alu instid0(VALU_DEP_1)
	v_cmpx_eq_u32_e32 0, v3
	s_cbranch_execz .LBB10_994
; %bb.993:                              ;   in Loop: Header=BB10_944 Depth=2
	s_bcnt1_i32_b32 s28, s28
	s_delay_alu instid0(SALU_CYCLE_1)
	v_mov_b32_e32 v48, s28
	s_wait_storecnt 0x0
	s_wait_loadcnt_dscnt 0x0
	ds_add_u64 v0, v[48:49]
	s_trap 2
.LBB10_994:                             ;   in Loop: Header=BB10_944 Depth=2
	s_or_b32 exec_lo, exec_lo, s17
	s_trap 2
	ds_load_b64 v[4:5], v0
	s_wait_dscnt 0x0
	v_add_nc_u64_e32 v[14:15], v[14:15], v[50:51]
	s_mov_b32 s17, exec_lo
	s_delay_alu instid0(VALU_DEP_1)
	v_cmpx_lt_u64_e64 v[4:5], v[14:15]
	s_cbranch_execz .LBB10_1003
; %bb.995:                              ;   in Loop: Header=BB10_944 Depth=2
	s_mov_b32 s28, 0
	s_mov_b32 s41, 0
                                        ; implicit-def: $sgpr29
                                        ; implicit-def: $sgpr40
	s_branch .LBB10_997
.LBB10_996:                             ;   in Loop: Header=BB10_997 Depth=3
	s_or_b32 exec_lo, exec_lo, s43
	s_delay_alu instid0(SALU_CYCLE_1) | instskip(NEXT) | instid1(SALU_CYCLE_1)
	s_and_b32 s42, exec_lo, s44
	s_or_b32 s28, s42, s28
	s_and_not1_b32 s29, s29, exec_lo
	s_and_b32 s42, s40, exec_lo
	s_delay_alu instid0(SALU_CYCLE_1)
	s_or_b32 s29, s29, s42
	s_and_not1_b32 exec_lo, exec_lo, s28
	s_cbranch_execz .LBB10_1001
.LBB10_997:                             ;   Parent Loop BB10_73 Depth=1
                                        ;     Parent Loop BB10_944 Depth=2
                                        ; =>    This Inner Loop Header: Depth=3
	s_add_co_i32 s41, s41, 1
	s_delay_alu instid0(SALU_CYCLE_1) | instskip(SKIP_1) | instid1(SALU_CYCLE_1)
	s_cmp_lg_u32 s41, 0x2710
	s_cselect_b32 s42, -1, 0
	s_and_b32 vcc_lo, exec_lo, s42
	s_cbranch_vccz .LBB10_999
; %bb.998:                              ;   in Loop: Header=BB10_997 Depth=3
	s_mov_b32 s44, -1
	s_or_b32 s40, s40, exec_lo
	s_and_saveexec_b32 s43, s42
	s_cbranch_execz .LBB10_996
	s_branch .LBB10_1000
.LBB10_999:                             ;   in Loop: Header=BB10_997 Depth=3
	s_trap 2
	ds_load_b64 v[4:5], v0
	s_and_not1_b32 s42, s42, exec_lo
	s_mov_b32 s41, 0
	s_wait_storecnt 0x0
	s_wait_loadcnt_dscnt 0x0
	flat_load_b32 v3, v[4:5] scope:SCOPE_SYS
	s_wait_loadcnt_dscnt 0x0
	global_inv scope:SCOPE_SYS
	v_cmp_eq_u32_e32 vcc_lo, 0, v3
	s_and_b32 s43, vcc_lo, exec_lo
	s_delay_alu instid0(SALU_CYCLE_1)
	s_or_b32 s42, s42, s43
	s_mov_b32 s44, -1
	s_or_b32 s40, s40, exec_lo
	s_and_saveexec_b32 s43, s42
	s_cbranch_execz .LBB10_996
.LBB10_1000:                            ;   in Loop: Header=BB10_997 Depth=3
	s_sleep 1
	s_trap 2
	ds_load_b64 v[4:5], v0
	s_wait_dscnt 0x0
	s_and_not1_b32 s40, s40, exec_lo
	v_cmp_ge_u64_e32 vcc_lo, v[4:5], v[14:15]
	s_or_not1_b32 s44, vcc_lo, exec_lo
	s_branch .LBB10_996
.LBB10_1001:                            ;   in Loop: Header=BB10_944 Depth=2
	s_or_b32 exec_lo, exec_lo, s28
	s_and_saveexec_b32 s28, s29
	s_delay_alu instid0(SALU_CYCLE_1)
	s_xor_b32 s28, exec_lo, s28
	s_cbranch_execz .LBB10_1003
; %bb.1002:                             ;   in Loop: Header=BB10_944 Depth=2
	ds_store_b32 v0, v60
	s_trap 2
.LBB10_1003:                            ;   in Loop: Header=BB10_944 Depth=2
	s_or_b32 exec_lo, exec_lo, s17
	;;#ASMSTART
	s_wakeup
	;;#ASMEND
.LBB10_1004:                            ;   in Loop: Header=BB10_944 Depth=2
	s_or_b32 exec_lo, exec_lo, s16
.LBB10_1005:                            ;   in Loop: Header=BB10_944 Depth=2
	s_and_not1_saveexec_b32 s15, s15
	s_cbranch_execz .LBB10_1007
; %bb.1006:                             ;   in Loop: Header=BB10_944 Depth=2
	;;#ASMSTART
	s_waitcnt lgkmcnt(0) vmcnt(0)
	;;#ASMEND
	s_barrier_signal -1
	s_barrier_wait -1
.LBB10_1007:                            ;   in Loop: Header=BB10_944 Depth=2
	s_or_b32 exec_lo, exec_lo, s15
.LBB10_1008:                            ;   in Loop: Header=BB10_944 Depth=2
	s_delay_alu instid0(SALU_CYCLE_1) | instskip(SKIP_2) | instid1(VALU_DEP_1)
	s_or_b32 exec_lo, exec_lo, s12
	v_and_b32_e32 v3, 32, v30
	s_mov_b32 s12, exec_lo
	v_cmpx_ne_u32_e32 0, v3
	s_cbranch_execz .LBB10_943
; %bb.1009:                             ;   in Loop: Header=BB10_944 Depth=2
	v_add_nc_u64_e32 v[100:101], 2, v[100:101]
	global_wb scope:SCOPE_SYS
	s_wait_storecnt 0x0
	s_wait_loadcnt_dscnt 0x0
	flat_store_b64 v[26:27], v[100:101] scope:SCOPE_SYS
	s_branch .LBB10_943
.LBB10_1010:
	s_or_b32 exec_lo, exec_lo, s22
.LBB10_1011:
	s_delay_alu instid0(SALU_CYCLE_1) | instskip(SKIP_2) | instid1(VALU_DEP_1)
	s_or_b32 exec_lo, exec_lo, s20
	v_and_b32_e32 v0, 0x800, v30
	s_mov_b32 s1, exec_lo
	v_cmpx_eq_u32_e32 0, v0
	s_cbranch_execz .LBB10_1044
; %bb.1012:
	v_and_b32_e32 v0, 48, v30
	s_mov_b32 s0, exec_lo
	s_delay_alu instid0(VALU_DEP_1)
	v_cmpx_ne_u32_e32 0, v0
	s_cbranch_execz .LBB10_1014
; %bb.1013:
	flat_store_b64 v[24:25], v[100:101] offset:104
.LBB10_1014:
	s_wait_xcnt 0x0
	s_or_b32 exec_lo, exec_lo, s0
	v_and_b32_e32 v0, 0x88, v30
	s_mov_b32 s2, exec_lo
	s_delay_alu instid0(VALU_DEP_1)
	v_cmpx_eq_u32_e32 0x88, v0
	s_cbranch_execz .LBB10_1024
; %bb.1015:
	v_add_nc_u32_e32 v0, 6, v100
	s_mov_b32 s3, 0
	s_delay_alu instid0(VALU_DEP_1) | instskip(NEXT) | instid1(VALU_DEP_1)
	v_and_b32_e32 v0, 7, v0
	v_mad_nc_u64_u32 v[2:3], v0, 24, v[12:13]
	v_and_b32_e32 v0, 64, v30
	s_delay_alu instid0(VALU_DEP_1)
	v_cmp_eq_u32_e64 s0, 0, v0
	flat_load_b64 v[4:5], v[2:3] offset:8 scope:SCOPE_SYS
	s_wait_loadcnt_dscnt 0x0
	v_cmp_ne_u64_e32 vcc_lo, -1, v[4:5]
	s_and_b32 s0, vcc_lo, s0
	s_wait_xcnt 0x0
	s_and_b32 exec_lo, exec_lo, s0
	s_cbranch_execz .LBB10_1024
; %bb.1016:
	s_mov_b32 s5, 0
                                        ; implicit-def: $sgpr0
                                        ; implicit-def: $sgpr4
	s_branch .LBB10_1019
.LBB10_1017:                            ;   in Loop: Header=BB10_1019 Depth=1
	flat_load_b64 v[4:5], v[2:3] offset:8 scope:SCOPE_SYS
	s_wait_loadcnt 0x0
	s_and_not1_b32 s4, s4, exec_lo
	s_wait_dscnt 0x0
	v_cmp_eq_u64_e32 vcc_lo, -1, v[4:5]
	s_or_not1_b32 s7, vcc_lo, exec_lo
.LBB10_1018:                            ;   in Loop: Header=BB10_1019 Depth=1
	s_wait_xcnt 0x0
	s_or_b32 exec_lo, exec_lo, s10
	s_delay_alu instid0(SALU_CYCLE_1) | instskip(NEXT) | instid1(SALU_CYCLE_1)
	s_and_b32 s6, exec_lo, s7
	s_or_b32 s3, s6, s3
	s_and_not1_b32 s0, s0, exec_lo
	s_and_b32 s6, s4, exec_lo
	s_delay_alu instid0(SALU_CYCLE_1)
	s_or_b32 s0, s0, s6
	s_and_not1_b32 exec_lo, exec_lo, s3
	s_cbranch_execz .LBB10_1022
.LBB10_1019:                            ; =>This Inner Loop Header: Depth=1
	s_cmp_lt_i32 s5, 0x270f
	s_cselect_b32 s6, -1, 0
	s_delay_alu instid0(SALU_CYCLE_1)
	s_and_b32 vcc_lo, exec_lo, s6
	s_cbranch_vccnz .LBB10_1021
; %bb.1020:                             ;   in Loop: Header=BB10_1019 Depth=1
	s_trap 2
	ds_load_b64 v[4:5], v0
	s_and_not1_b32 s6, s6, exec_lo
	s_mov_b32 s5, 0
	s_wait_storecnt_dscnt 0x0
	flat_load_b32 v0, v[4:5] scope:SCOPE_SYS
	s_wait_loadcnt_dscnt 0x0
	global_inv scope:SCOPE_SYS
	v_cmp_eq_u32_e32 vcc_lo, 0, v0
	s_and_b32 s7, vcc_lo, exec_lo
	s_delay_alu instid0(SALU_CYCLE_1)
	s_or_b32 s6, s6, s7
	s_mov_b32 s7, -1
	s_or_b32 s4, s4, exec_lo
	s_wait_xcnt 0x0
	s_and_saveexec_b32 s10, s6
	s_cbranch_execz .LBB10_1018
	s_branch .LBB10_1017
.LBB10_1021:                            ;   in Loop: Header=BB10_1019 Depth=1
	s_add_co_i32 s5, s5, 1
                                        ; implicit-def: $vgpr0
	s_mov_b32 s7, -1
	s_or_b32 s4, s4, exec_lo
	s_and_saveexec_b32 s10, s6
	s_cbranch_execz .LBB10_1018
	s_branch .LBB10_1017
.LBB10_1022:
	s_or_b32 exec_lo, exec_lo, s3
	s_and_saveexec_b32 s3, s0
	s_delay_alu instid0(SALU_CYCLE_1)
	s_xor_b32 s3, exec_lo, s3
	s_cbranch_execz .LBB10_1024
; %bb.1023:
	s_wait_loadcnt 0x0
	s_wait_storecnt 0x0
	ds_store_b32 v0, v0
	s_trap 2
.LBB10_1024:
	s_or_b32 exec_lo, exec_lo, s2
	v_and_b32_e32 v0, 0x2000, v30
	s_mov_b32 s0, exec_lo
	s_delay_alu instid0(VALU_DEP_1)
	v_cmpx_ne_u32_e32 0, v0
	s_cbranch_execz .LBB10_1026
; %bb.1025:
	s_trap 2
	ds_load_b64 v[2:3], v0
	s_wait_dscnt 0x0
	flat_store_b64 v[22:23], v[2:3] offset:16
.LBB10_1026:
	s_wait_xcnt 0x0
	s_or_b32 exec_lo, exec_lo, s0
	v_cmp_ne_u32_e32 vcc_lo, 32, v1
	s_and_b32 exec_lo, exec_lo, vcc_lo
	s_cbranch_execz .LBB10_1044
; %bb.1027:
	s_mov_b32 s0, exec_lo
	v_cmpx_ne_u32_e64 v1, v58
	s_xor_b32 s0, exec_lo, s0
	s_cbranch_execz .LBB10_1042
; %bb.1028:
	v_and_b32_e32 v0, 31, v31
	s_mov_b32 s2, exec_lo
	s_delay_alu instid0(VALU_DEP_1)
	v_cmpx_eq_u32_e32 0, v0
	s_cbranch_execz .LBB10_1041
; %bb.1029:
	s_mov_b32 s4, exec_lo
	s_mov_b32 s3, exec_lo
	v_mbcnt_lo_u32_b32 v0, s4, 0
	global_wb scope:SCOPE_DEV
	s_wait_storecnt 0x0
	s_wait_loadcnt_dscnt 0x0
	global_inv scope:SCOPE_DEV
	v_cmpx_eq_u32_e32 0, v0
	s_cbranch_execz .LBB10_1031
; %bb.1030:
	s_bcnt1_i32_b32 s4, s4
	s_delay_alu instid0(SALU_CYCLE_1)
	v_dual_mov_b32 v3, 0 :: v_dual_mov_b32 v2, s4
	s_wait_loadcnt 0x0
	ds_add_u64 v0, v[2:3]
	s_trap 2
.LBB10_1031:
	s_or_b32 exec_lo, exec_lo, s3
	s_trap 2
	ds_load_b64 v[2:3], v0
	s_wait_dscnt 0x0
	v_dual_mov_b32 v1, 0 :: v_dual_lshrrev_b32 v0, 5, v1
	s_mov_b32 s3, exec_lo
	s_delay_alu instid0(VALU_DEP_1) | instskip(NEXT) | instid1(VALU_DEP_1)
	v_add_nc_u64_e32 v[0:1], v[14:15], v[0:1]
	v_cmpx_lt_u64_e64 v[2:3], v[0:1]
	s_cbranch_execz .LBB10_1040
; %bb.1032:
	s_mov_b32 s4, 0
	s_mov_b32 s7, 0
                                        ; implicit-def: $sgpr5
                                        ; implicit-def: $sgpr6
	s_branch .LBB10_1034
.LBB10_1033:                            ;   in Loop: Header=BB10_1034 Depth=1
	s_or_b32 exec_lo, exec_lo, s11
	s_delay_alu instid0(SALU_CYCLE_1) | instskip(NEXT) | instid1(SALU_CYCLE_1)
	s_and_b32 s10, exec_lo, s12
	s_or_b32 s4, s10, s4
	s_and_not1_b32 s5, s5, exec_lo
	s_and_b32 s10, s6, exec_lo
	s_delay_alu instid0(SALU_CYCLE_1)
	s_or_b32 s5, s5, s10
	s_and_not1_b32 exec_lo, exec_lo, s4
	s_cbranch_execz .LBB10_1038
.LBB10_1034:                            ; =>This Inner Loop Header: Depth=1
	s_add_co_i32 s7, s7, 1
	s_delay_alu instid0(SALU_CYCLE_1) | instskip(SKIP_1) | instid1(SALU_CYCLE_1)
	s_cmp_lg_u32 s7, 0x2710
	s_cselect_b32 s10, -1, 0
	s_and_b32 vcc_lo, exec_lo, s10
	s_cbranch_vccz .LBB10_1036
; %bb.1035:                             ;   in Loop: Header=BB10_1034 Depth=1
	s_mov_b32 s12, -1
	s_or_b32 s6, s6, exec_lo
	s_and_saveexec_b32 s11, s10
	s_cbranch_execz .LBB10_1033
	s_branch .LBB10_1037
.LBB10_1036:                            ;   in Loop: Header=BB10_1034 Depth=1
	s_trap 2
	ds_load_b64 v[2:3], v0
	s_and_not1_b32 s10, s10, exec_lo
	s_mov_b32 s7, 0
	s_wait_loadcnt_dscnt 0x0
	flat_load_b32 v2, v[2:3] scope:SCOPE_SYS
	s_wait_loadcnt_dscnt 0x0
	global_inv scope:SCOPE_SYS
	v_cmp_eq_u32_e32 vcc_lo, 0, v2
	s_and_b32 s11, vcc_lo, exec_lo
	s_delay_alu instid0(SALU_CYCLE_1)
	s_or_b32 s10, s10, s11
	s_mov_b32 s12, -1
	s_or_b32 s6, s6, exec_lo
	s_and_saveexec_b32 s11, s10
	s_cbranch_execz .LBB10_1033
.LBB10_1037:                            ;   in Loop: Header=BB10_1034 Depth=1
	s_sleep 1
	s_trap 2
	ds_load_b64 v[2:3], v0
	s_wait_dscnt 0x0
	s_and_not1_b32 s6, s6, exec_lo
	v_cmp_ge_u64_e32 vcc_lo, v[2:3], v[0:1]
	s_or_not1_b32 s12, vcc_lo, exec_lo
	s_branch .LBB10_1033
.LBB10_1038:
	s_or_b32 exec_lo, exec_lo, s4
	s_and_saveexec_b32 s4, s5
	s_delay_alu instid0(SALU_CYCLE_1)
	s_xor_b32 s4, exec_lo, s4
	s_cbranch_execz .LBB10_1040
; %bb.1039:
	v_mov_b32_e32 v0, 1
	ds_store_b32 v0, v0
	s_trap 2
.LBB10_1040:
	s_or_b32 exec_lo, exec_lo, s3
	;;#ASMSTART
	s_wakeup
	;;#ASMEND
.LBB10_1041:
	s_or_b32 exec_lo, exec_lo, s2
.LBB10_1042:
	s_and_not1_saveexec_b32 s0, s0
	s_cbranch_execz .LBB10_1044
; %bb.1043:
	global_wb scope:SCOPE_DEV
	s_wait_storecnt 0x0
	s_wait_loadcnt_dscnt 0x0
	global_inv scope:SCOPE_DEV
	s_barrier_signal -1
	s_barrier_wait -1
.LBB10_1044:
	s_or_b32 exec_lo, exec_lo, s1
.LBB10_1045:
	s_and_not1_saveexec_b32 s22, s19
	s_cbranch_execz .LBB10_1047
; %bb.1046:
	s_get_pc_i64 s[0:1]
	s_add_nc_u64 s[0:1], s[0:1], __PRETTY_FUNCTION__._ZN10PrimitivesIa7FuncSumIaE12FanSymmetricILi1EELi0E11ProtoSimpleILi2ELi2ELi0ELi2ELi0ELi0EELi0ELb0ELi0ELi0ELi0EEC2EiiPKiS8_PKvPvmhhhP15ncclDevWorkCollP14ncclDevWorkP2pii@rel64+4
	s_get_pc_i64 s[2:3]
	s_add_nc_u64 s[2:3], s[2:3], __assert_fail@rel64+4
	v_dual_mov_b32 v0, s0 :: v_dual_mov_b32 v1, s1
	s_swap_pc_i64 s[30:31], s[2:3]
	; divergent unreachable
.LBB10_1047:
	s_or_b32 exec_lo, exec_lo, s22
.LBB10_1048:
	s_delay_alu instid0(SALU_CYCLE_1)
	s_or_b32 exec_lo, exec_lo, s21
	s_clause 0x1f
	scratch_load_b32 v95, off, s33
	scratch_load_b32 v94, off, s33 offset:4
	scratch_load_b32 v93, off, s33 offset:8
	;; [unrolled: 1-line block ×31, first 2 shown]
	v_readlane_b32 s30, v104, 0
	v_readlane_b32 s31, v104, 1
	s_mov_b32 s32, s33
	s_wait_xcnt 0x0
	s_or_saveexec_b32 s0, -1
	scratch_load_b32 v104, off, s33 offset:128 ; 4-byte Folded Reload
	s_wait_xcnt 0x0
	s_mov_b32 exec_lo, s0
	s_mov_b32 s33, s59
	s_wait_loadcnt_dscnt 0x0
	s_set_pc_i64 s[30:31]
.Lfunc_end10:
	.size	_ZN12_GLOBAL__N_17runRingIa7FuncSumIaE11ProtoSimpleILi2ELi2ELi0ELi2ELi0ELi0EELi0ELi2ELi0ELb0EEEviiP15ncclDevWorkColl, .Lfunc_end10-_ZN12_GLOBAL__N_17runRingIa7FuncSumIaE11ProtoSimpleILi2ELi2ELi0ELi2ELi0ELi0EELi0ELi2ELi0ELb0EEEviiP15ncclDevWorkColl
                                        ; -- End function
	.set .L_ZN12_GLOBAL__N_17runRingIa7FuncSumIaE11ProtoSimpleILi2ELi2ELi0ELi2ELi0ELi0EELi0ELi2ELi0ELb0EEEviiP15ncclDevWorkColl.num_vgpr, max(120, .L__assert_fail.num_vgpr)
	.set .L_ZN12_GLOBAL__N_17runRingIa7FuncSumIaE11ProtoSimpleILi2ELi2ELi0ELi2ELi0ELi0EELi0ELi2ELi0ELb0EEEviiP15ncclDevWorkColl.num_agpr, max(0, .L__assert_fail.num_agpr)
	.set .L_ZN12_GLOBAL__N_17runRingIa7FuncSumIaE11ProtoSimpleILi2ELi2ELi0ELi2ELi0ELi0EELi0ELi2ELi0ELb0EEEviiP15ncclDevWorkColl.numbered_sgpr, max(60, .L__assert_fail.numbered_sgpr)
	.set .L_ZN12_GLOBAL__N_17runRingIa7FuncSumIaE11ProtoSimpleILi2ELi2ELi0ELi2ELi0ELi0EELi0ELi2ELi0ELb0EEEviiP15ncclDevWorkColl.num_named_barrier, max(0, .L__assert_fail.num_named_barrier)
	.set .L_ZN12_GLOBAL__N_17runRingIa7FuncSumIaE11ProtoSimpleILi2ELi2ELi0ELi2ELi0ELi0EELi0ELi2ELi0ELb0EEEviiP15ncclDevWorkColl.private_seg_size, 144+max(.L__assert_fail.private_seg_size)
	.set .L_ZN12_GLOBAL__N_17runRingIa7FuncSumIaE11ProtoSimpleILi2ELi2ELi0ELi2ELi0ELi0EELi0ELi2ELi0ELb0EEEviiP15ncclDevWorkColl.uses_vcc, or(1, .L__assert_fail.uses_vcc)
	.set .L_ZN12_GLOBAL__N_17runRingIa7FuncSumIaE11ProtoSimpleILi2ELi2ELi0ELi2ELi0ELi0EELi0ELi2ELi0ELb0EEEviiP15ncclDevWorkColl.uses_flat_scratch, or(1, .L__assert_fail.uses_flat_scratch)
	.set .L_ZN12_GLOBAL__N_17runRingIa7FuncSumIaE11ProtoSimpleILi2ELi2ELi0ELi2ELi0ELi0EELi0ELi2ELi0ELb0EEEviiP15ncclDevWorkColl.has_dyn_sized_stack, or(0, .L__assert_fail.has_dyn_sized_stack)
	.set .L_ZN12_GLOBAL__N_17runRingIa7FuncSumIaE11ProtoSimpleILi2ELi2ELi0ELi2ELi0ELi0EELi0ELi2ELi0ELb0EEEviiP15ncclDevWorkColl.has_recursion, or(1, .L__assert_fail.has_recursion)
	.set .L_ZN12_GLOBAL__N_17runRingIa7FuncSumIaE11ProtoSimpleILi2ELi2ELi0ELi2ELi0ELi0EELi0ELi2ELi0ELb0EEEviiP15ncclDevWorkColl.has_indirect_call, or(0, .L__assert_fail.has_indirect_call)
	.section	.AMDGPU.csdata,"",@progbits
; Function info:
; codeLenInByte = 37248
; TotalNumSgprs: 62
; NumVgprs: 120
; ScratchSize: 208
; MemoryBound: 0
	.text
	.p2align	2                               ; -- Begin function _Z46ncclDevFunc_AllGather_RING_SIMPLE_Sum_i8_0_0_2v
	.type	_Z46ncclDevFunc_AllGather_RING_SIMPLE_Sum_i8_0_0_2v,@function
_Z46ncclDevFunc_AllGather_RING_SIMPLE_Sum_i8_0_0_2v: ; @_Z46ncclDevFunc_AllGather_RING_SIMPLE_Sum_i8_0_0_2v
; %bb.0:
	s_wait_loadcnt_dscnt 0x0
	s_wait_kmcnt 0x0
	s_mov_b32 s75, s33
	s_mov_b32 s33, s32
	s_or_saveexec_b32 s0, -1
	scratch_store_b32 off, v42, s33 offset:12 ; 4-byte Folded Spill
	s_wait_xcnt 0x0
	s_mov_b32 exec_lo, s0
	s_add_co_i32 s32, s32, 32
	s_clause 0x2
	scratch_store_b32 off, v40, s33 offset:8
	; meta instruction
	scratch_store_b32 off, v41, s33 offset:4
	; meta instruction
	scratch_store_b32 off, v104, s33
	v_writelane_b32 v42, s30, 0
	v_writelane_b32 v42, s31, 1
	s_trap 2
	ds_load_b32 v0, v0
	s_wait_xcnt 0x2
	v_mov_b32_e32 v40, v31
	s_wait_dscnt 0x0
	v_cmp_gt_i32_e32 vcc_lo, 1, v0
	s_cbranch_vccnz .LBB11_8
; %bb.1:
	s_wait_xcnt 0x1
	v_and_b32_e32 v41, 0x3ff, v40
	s_mov_b32 s62, s12
	s_mov_b64 s[60:61], s[8:9]
	s_mov_b32 s63, 0
	s_get_pc_i64 s[72:73]
	s_add_nc_u64 s[72:73], s[72:73], _ZN12_GLOBAL__N_17runRingIa7FuncSumIaE11ProtoSimpleILi2ELi2ELi0ELi2ELi0ELi0EELi0ELi2ELi0ELb0EEEviiP15ncclDevWorkColl@rel64+4
	s_branch .LBB11_3
.LBB11_2:                               ;   in Loop: Header=BB11_3 Depth=1
	s_or_b32 exec_lo, exec_lo, s74
	s_trap 2
	ds_load_b32 v0, v0
	s_add_co_i32 s63, s63, 1
	s_wait_dscnt 0x0
	v_cmp_lt_i32_e32 vcc_lo, s63, v0
	s_cbranch_vccz .LBB11_8
.LBB11_3:                               ; =>This Inner Loop Header: Depth=1
	s_trap 2
	ds_load_b32 v0, v0
	s_cmp_eq_u32 s63, 0
	s_cbranch_scc1 .LBB11_6
; %bb.4:                                ;   in Loop: Header=BB11_3 Depth=1
	s_trap 2
	s_wait_dscnt 0x0
	ds_load_b32 v1, v0
	s_wait_dscnt 0x0
	v_xor_b32_e32 v1, v1, v0
	s_delay_alu instid0(VALU_DEP_1) | instskip(NEXT) | instid1(VALU_DEP_1)
	v_and_b32_e32 v1, 0xff0000, v1
	v_cmp_eq_u32_e32 vcc_lo, 0, v1
	s_cbranch_vccnz .LBB11_6
; %bb.5:                                ;   in Loop: Header=BB11_3 Depth=1
	s_wait_storecnt 0x0
	s_barrier_signal -1
	s_barrier_wait -1
	ds_load_b32 v0, v0
.LBB11_6:                               ;   in Loop: Header=BB11_3 Depth=1
	s_wait_dscnt 0x0
	v_lshrrev_b32_e32 v0, 11, v0
	s_mov_b32 s74, exec_lo
	s_delay_alu instid0(VALU_DEP_1) | instskip(SKIP_1) | instid1(VALU_DEP_1)
	v_and_b32_e32 v1, 0x1fe0, v0
	s_wait_xcnt 0x0
	v_cmpx_lt_u32_e64 v41, v1
	s_cbranch_execz .LBB11_2
; %bb.7:                                ;   in Loop: Header=BB11_3 Depth=1
	s_mov_b64 s[0:1], src_shared_base
	v_dual_mov_b32 v31, v40 :: v_dual_mov_b32 v0, v41
	v_mov_b32_e32 v3, s1
	s_mov_b64 s[8:9], s[60:61]
	s_mov_b32 s12, s62
	s_swap_pc_i64 s[30:31], s[72:73]
	s_branch .LBB11_2
.LBB11_8:
	s_clause 0x2
	scratch_load_b32 v104, off, s33
	scratch_load_b32 v41, off, s33 offset:4
	scratch_load_b32 v40, off, s33 offset:8
	v_readlane_b32 s30, v42, 0
	v_readlane_b32 s31, v42, 1
	s_mov_b32 s32, s33
	s_wait_xcnt 0x0
	s_or_saveexec_b32 s0, -1
	scratch_load_b32 v42, off, s33 offset:12 ; 4-byte Folded Reload
	s_wait_xcnt 0x0
	s_mov_b32 exec_lo, s0
	s_mov_b32 s33, s75
	s_wait_loadcnt 0x0
	s_set_pc_i64 s[30:31]
.Lfunc_end11:
	.size	_Z46ncclDevFunc_AllGather_RING_SIMPLE_Sum_i8_0_0_2v, .Lfunc_end11-_Z46ncclDevFunc_AllGather_RING_SIMPLE_Sum_i8_0_0_2v
                                        ; -- End function
	.set .L_Z46ncclDevFunc_AllGather_RING_SIMPLE_Sum_i8_0_0_2v.num_vgpr, max(105, .L_ZN12_GLOBAL__N_17runRingIa7FuncSumIaE11ProtoSimpleILi2ELi2ELi0ELi2ELi0ELi0EELi0ELi2ELi0ELb0EEEviiP15ncclDevWorkColl.num_vgpr)
	.set .L_Z46ncclDevFunc_AllGather_RING_SIMPLE_Sum_i8_0_0_2v.num_agpr, max(0, .L_ZN12_GLOBAL__N_17runRingIa7FuncSumIaE11ProtoSimpleILi2ELi2ELi0ELi2ELi0ELi0EELi0ELi2ELi0ELb0EEEviiP15ncclDevWorkColl.num_agpr)
	.set .L_Z46ncclDevFunc_AllGather_RING_SIMPLE_Sum_i8_0_0_2v.numbered_sgpr, max(76, .L_ZN12_GLOBAL__N_17runRingIa7FuncSumIaE11ProtoSimpleILi2ELi2ELi0ELi2ELi0ELi0EELi0ELi2ELi0ELb0EEEviiP15ncclDevWorkColl.numbered_sgpr)
	.set .L_Z46ncclDevFunc_AllGather_RING_SIMPLE_Sum_i8_0_0_2v.num_named_barrier, max(0, .L_ZN12_GLOBAL__N_17runRingIa7FuncSumIaE11ProtoSimpleILi2ELi2ELi0ELi2ELi0ELi0EELi0ELi2ELi0ELb0EEEviiP15ncclDevWorkColl.num_named_barrier)
	.set .L_Z46ncclDevFunc_AllGather_RING_SIMPLE_Sum_i8_0_0_2v.private_seg_size, 32+max(.L_ZN12_GLOBAL__N_17runRingIa7FuncSumIaE11ProtoSimpleILi2ELi2ELi0ELi2ELi0ELi0EELi0ELi2ELi0ELb0EEEviiP15ncclDevWorkColl.private_seg_size)
	.set .L_Z46ncclDevFunc_AllGather_RING_SIMPLE_Sum_i8_0_0_2v.uses_vcc, or(1, .L_ZN12_GLOBAL__N_17runRingIa7FuncSumIaE11ProtoSimpleILi2ELi2ELi0ELi2ELi0ELi0EELi0ELi2ELi0ELb0EEEviiP15ncclDevWorkColl.uses_vcc)
	.set .L_Z46ncclDevFunc_AllGather_RING_SIMPLE_Sum_i8_0_0_2v.uses_flat_scratch, or(1, .L_ZN12_GLOBAL__N_17runRingIa7FuncSumIaE11ProtoSimpleILi2ELi2ELi0ELi2ELi0ELi0EELi0ELi2ELi0ELb0EEEviiP15ncclDevWorkColl.uses_flat_scratch)
	.set .L_Z46ncclDevFunc_AllGather_RING_SIMPLE_Sum_i8_0_0_2v.has_dyn_sized_stack, or(0, .L_ZN12_GLOBAL__N_17runRingIa7FuncSumIaE11ProtoSimpleILi2ELi2ELi0ELi2ELi0ELi0EELi0ELi2ELi0ELb0EEEviiP15ncclDevWorkColl.has_dyn_sized_stack)
	.set .L_Z46ncclDevFunc_AllGather_RING_SIMPLE_Sum_i8_0_0_2v.has_recursion, or(1, .L_ZN12_GLOBAL__N_17runRingIa7FuncSumIaE11ProtoSimpleILi2ELi2ELi0ELi2ELi0ELi0EELi0ELi2ELi0ELb0EEEviiP15ncclDevWorkColl.has_recursion)
	.set .L_Z46ncclDevFunc_AllGather_RING_SIMPLE_Sum_i8_0_0_2v.has_indirect_call, or(0, .L_ZN12_GLOBAL__N_17runRingIa7FuncSumIaE11ProtoSimpleILi2ELi2ELi0ELi2ELi0ELi0EELi0ELi2ELi0ELb0EEEviiP15ncclDevWorkColl.has_indirect_call)
	.section	.AMDGPU.csdata,"",@progbits
; Function info:
; codeLenInByte = 464
; TotalNumSgprs: 78
; NumVgprs: 120
; ScratchSize: 240
; MemoryBound: 0
	.text
	.p2align	2                               ; -- Begin function _Z41ncclDevFunc_AllGather_PAT_LL_Sum_i8_0_0_2v
	.type	_Z41ncclDevFunc_AllGather_PAT_LL_Sum_i8_0_0_2v,@function
_Z41ncclDevFunc_AllGather_PAT_LL_Sum_i8_0_0_2v: ; @_Z41ncclDevFunc_AllGather_PAT_LL_Sum_i8_0_0_2v
; %bb.0:
	s_wait_loadcnt_dscnt 0x0
	s_wait_kmcnt 0x0
	s_trap 2
	ds_load_b32 v0, v0
	s_wait_dscnt 0x0
	v_cmp_gt_i32_e32 vcc_lo, 1, v0
	s_cbranch_vccnz .LBB12_6
; %bb.1:
	s_mov_b32 s0, 0
	s_branch .LBB12_3
.LBB12_2:                               ;   in Loop: Header=BB12_3 Depth=1
	s_add_co_i32 s0, s0, 1
	s_wait_dscnt 0x0
	v_cmp_lt_i32_e32 vcc_lo, s0, v0
	s_cbranch_vccz .LBB12_6
.LBB12_3:                               ; =>This Inner Loop Header: Depth=1
	s_cmp_eq_u32 s0, 0
	s_cbranch_scc1 .LBB12_2
; %bb.4:                                ;   in Loop: Header=BB12_3 Depth=1
	s_trap 2
	ds_load_b32 v1, v0
	s_wait_dscnt 0x0
	v_xor_b32_e32 v1, v1, v1
	s_delay_alu instid0(VALU_DEP_1) | instskip(NEXT) | instid1(VALU_DEP_1)
	v_and_b32_e32 v1, 0xff0000, v1
	v_cmp_eq_u32_e32 vcc_lo, 0, v1
	s_cbranch_vccnz .LBB12_2
; %bb.5:                                ;   in Loop: Header=BB12_3 Depth=1
	s_wait_storecnt 0x0
	s_barrier_signal -1
	s_barrier_wait -1
	s_trap 2
	ds_load_b32 v0, v0
	s_branch .LBB12_2
.LBB12_6:
	s_set_pc_i64 s[30:31]
.Lfunc_end12:
	.size	_Z41ncclDevFunc_AllGather_PAT_LL_Sum_i8_0_0_2v, .Lfunc_end12-_Z41ncclDevFunc_AllGather_PAT_LL_Sum_i8_0_0_2v
                                        ; -- End function
	.set .L_Z41ncclDevFunc_AllGather_PAT_LL_Sum_i8_0_0_2v.num_vgpr, 2
	.set .L_Z41ncclDevFunc_AllGather_PAT_LL_Sum_i8_0_0_2v.num_agpr, 0
	.set .L_Z41ncclDevFunc_AllGather_PAT_LL_Sum_i8_0_0_2v.numbered_sgpr, 32
	.set .L_Z41ncclDevFunc_AllGather_PAT_LL_Sum_i8_0_0_2v.num_named_barrier, 0
	.set .L_Z41ncclDevFunc_AllGather_PAT_LL_Sum_i8_0_0_2v.private_seg_size, 0
	.set .L_Z41ncclDevFunc_AllGather_PAT_LL_Sum_i8_0_0_2v.uses_vcc, 1
	.set .L_Z41ncclDevFunc_AllGather_PAT_LL_Sum_i8_0_0_2v.uses_flat_scratch, 0
	.set .L_Z41ncclDevFunc_AllGather_PAT_LL_Sum_i8_0_0_2v.has_dyn_sized_stack, 0
	.set .L_Z41ncclDevFunc_AllGather_PAT_LL_Sum_i8_0_0_2v.has_recursion, 0
	.set .L_Z41ncclDevFunc_AllGather_PAT_LL_Sum_i8_0_0_2v.has_indirect_call, 0
	.section	.AMDGPU.csdata,"",@progbits
; Function info:
; codeLenInByte = 136
; TotalNumSgprs: 34
; NumVgprs: 2
; ScratchSize: 0
; MemoryBound: 0
	.text
	.p2align	2                               ; -- Begin function _Z45ncclDevFunc_AllGather_PAT_SIMPLE_Sum_i8_0_0_2v
	.type	_Z45ncclDevFunc_AllGather_PAT_SIMPLE_Sum_i8_0_0_2v,@function
_Z45ncclDevFunc_AllGather_PAT_SIMPLE_Sum_i8_0_0_2v: ; @_Z45ncclDevFunc_AllGather_PAT_SIMPLE_Sum_i8_0_0_2v
; %bb.0:
	s_wait_loadcnt_dscnt 0x0
	s_wait_kmcnt 0x0
	s_trap 2
	ds_load_b32 v0, v0
	s_wait_dscnt 0x0
	v_cmp_gt_i32_e32 vcc_lo, 1, v0
	s_cbranch_vccnz .LBB13_394
; %bb.1:
	s_load_b32 s0, s[8:9], 0x0
	s_bfe_u32 s1, ttmp6, 0x4000c
	s_and_b32 s2, ttmp6, 15
	s_add_co_i32 s1, s1, 1
	s_getreg_b32 s3, hwreg(HW_REG_IB_STS2, 6, 4)
	s_mul_i32 s1, ttmp9, s1
	s_mov_b32 s13, 0
	s_add_co_i32 s2, s2, s1
	s_cmp_eq_u32 s3, 0
	v_and_b32_e32 v70, 0x3ff, v31
	s_cselect_b32 s1, ttmp9, s2
	v_dual_mov_b32 v18, 0 :: v_dual_bitop2_b32 v0, 31, v31 bitop3:0x40
	v_mov_b64_e32 v[20:21], 0
	v_mov_b64_e32 v[22:23], 0x100000004
	;; [unrolled: 1-line block ×4, first 2 shown]
	v_cmp_eq_u32_e64 s2, 0x80, v70
	v_cmp_ne_u32_e64 s3, 0x80, v70
	v_cvt_f32_i32_e32 v71, v70
	s_wait_kmcnt 0x0
	s_cmp_lt_u32 s1, s0
	v_cmp_gt_u32_e64 s0, 32, v70
	s_cselect_b32 s12, 12, 18
	v_cmp_eq_u32_e64 s1, 0, v70
	s_add_nc_u64 s[4:5], s[8:9], s[12:13]
	v_dual_mov_b32 v80, 1 :: v_dual_mov_b32 v81, -1
	s_load_u16 s16, s[4:5], 0x0
	s_wait_xcnt 0x0
	v_cmp_gt_u32_e64 s4, 0x80, v70
	v_cmp_eq_u32_e64 s5, 0, v0
	v_dual_mov_b32 v82, 2 :: v_dual_mov_b32 v83, 0x7ffffff0
	v_mov_b32_e32 v84, 0x318
	s_add_co_i32 s17, s32, 0xd8
	s_addk_co_i32 s18, 0x700
	s_get_pc_i64 s[14:15]
	s_add_nc_u64 s[14:15], s[14:15], __const.Primitives.roles.8@rel64+4
	s_trap 2
	s_branch .LBB13_4
.LBB13_2:                               ;   in Loop: Header=BB13_4 Depth=1
	s_or_b32 exec_lo, exec_lo, s10
.LBB13_3:                               ;   in Loop: Header=BB13_4 Depth=1
	s_delay_alu instid0(SALU_CYCLE_1)
	s_or_b32 exec_lo, exec_lo, s19
	s_trap 2
	ds_load_b32 v0, v0
	s_add_co_i32 s13, s13, 1
	s_wait_dscnt 0x0
	v_cmp_lt_i32_e32 vcc_lo, s13, v0
	s_cbranch_vccz .LBB13_394
.LBB13_4:                               ; =>This Loop Header: Depth=1
                                        ;     Child Loop BB13_18 Depth 2
                                        ;     Child Loop BB13_26 Depth 2
                                        ;     Child Loop BB13_40 Depth 2
                                        ;     Child Loop BB13_53 Depth 2
                                        ;       Child Loop BB13_54 Depth 3
                                        ;       Child Loop BB13_86 Depth 3
	;; [unrolled: 1-line block ×12, first 2 shown]
                                        ;     Child Loop BB13_236 Depth 2
                                        ;     Child Loop BB13_248 Depth 2
	;; [unrolled: 1-line block ×7, first 2 shown]
                                        ;       Child Loop BB13_295 Depth 3
                                        ;       Child Loop BB13_354 Depth 3
	;; [unrolled: 1-line block ×5, first 2 shown]
	s_trap 2
	ds_load_b32 v0, v0
	s_cmp_eq_u32 s13, 0
	s_wait_dscnt 0x0
	v_readfirstlane_b32 s7, v0
	s_cbranch_scc1 .LBB13_7
; %bb.5:                                ;   in Loop: Header=BB13_4 Depth=1
	s_trap 2
	ds_load_b32 v0, v0
	s_wait_dscnt 0x0
	v_xor_b32_e32 v0, s7, v0
	s_delay_alu instid0(VALU_DEP_1) | instskip(NEXT) | instid1(VALU_DEP_1)
	v_and_b32_e32 v0, 0xff0000, v0
	v_cmp_eq_u32_e32 vcc_lo, 0, v0
	s_cbranch_vccnz .LBB13_7
; %bb.6:                                ;   in Loop: Header=BB13_4 Depth=1
	s_wait_storecnt 0x0
	s_barrier_signal -1
	s_barrier_wait -1
	s_trap 2
	ds_load_b32 v0, v0
	s_wait_dscnt 0x0
	v_readfirstlane_b32 s7, v0
.LBB13_7:                               ;   in Loop: Header=BB13_4 Depth=1
	s_delay_alu instid0(VALU_DEP_1) | instskip(SKIP_2) | instid1(SALU_CYCLE_1)
	s_lshr_b32 s6, s7, 11
	s_mov_b32 s19, exec_lo
	s_and_b32 s6, s6, 0x1fe0
	v_cmpx_gt_u32_e64 s6, v70
	s_cbranch_execz .LBB13_3
; %bb.8:                                ;   in Loop: Header=BB13_4 Depth=1
	s_trap 2
	ds_load_2addr_b64 v[0:3], v0 offset1:1
	s_and_b32 s12, s7, 0xff
	s_bfe_u32 s9, s7, 0x80008
	s_not_b32 s8, s12
	s_wait_dscnt 0x0
	ds_load_b32 v4, v0
	ds_load_b64 v[6:7], v0
	s_add_co_i32 s10, s9, s8
	s_delay_alu instid0(SALU_CYCLE_1) | instskip(NEXT) | instid1(SALU_CYCLE_1)
	s_ashr_i32 s11, s10, 31
	v_mul_u64_e32 v[8:9], s[10:11], v[2:3]
	s_wait_dscnt 0x1
	v_cmp_ne_u32_e32 vcc_lo, s12, v4
	s_wait_dscnt 0x0
	v_readfirstlane_b32 s21, v6
	v_readfirstlane_b32 s20, v7
	s_delay_alu instid0(VALU_DEP_4)
	v_add_nc_u64_e32 v[8:9], v[8:9], v[0:1]
	s_cbranch_vccz .LBB13_11
; %bb.9:                                ;   in Loop: Header=BB13_4 Depth=1
	v_cmp_ne_u32_e32 vcc_lo, s9, v4
	s_cbranch_vccz .LBB13_12
; %bb.10:                               ;   in Loop: Header=BB13_4 Depth=1
	v_add_nc_u32_e32 v4, s8, v4
	s_trap 2
	ds_load_b64 v[10:11], v0
	v_ashrrev_i32_e32 v5, 31, v4
	s_delay_alu instid0(VALU_DEP_1) | instskip(SKIP_2) | instid1(VALU_DEP_2)
	v_mul_u64_e32 v[4:5], v[2:3], v[4:5]
	s_wait_dscnt 0x0
	v_lshrrev_b64 v[10:11], 12, v[10:11]
	v_add_nc_u64_e32 v[4:5], v[4:5], v[0:1]
	s_cbranch_execz .LBB13_13
	s_branch .LBB13_14
.LBB13_11:                              ;   in Loop: Header=BB13_4 Depth=1
                                        ; implicit-def: $vgpr10_vgpr11
                                        ; implicit-def: $vgpr4_vgpr5
	s_branch .LBB13_15
.LBB13_12:                              ;   in Loop: Header=BB13_4 Depth=1
                                        ; implicit-def: $vgpr10_vgpr11
                                        ; implicit-def: $vgpr4_vgpr5
.LBB13_13:                              ;   in Loop: Header=BB13_4 Depth=1
	s_trap 2
	ds_load_b32 v2, v0
	v_mov_b64_e32 v[4:5], v[8:9]
	s_wait_dscnt 0x0
	v_lshrrev_b32_e32 v10, 1, v2
	v_mov_b64_e32 v[2:3], v[6:7]
.LBB13_14:                              ;   in Loop: Header=BB13_4 Depth=1
	s_cbranch_execnz .LBB13_16
.LBB13_15:                              ;   in Loop: Header=BB13_4 Depth=1
	s_trap 2
	ds_load_b64 v[2:3], v0
	v_mov_b64_e32 v[4:5], 0
	s_wait_dscnt 0x0
	v_lshlrev_b64_e32 v[10:11], 9, v[2:3]
	v_mov_b64_e32 v[2:3], v[0:1]
.LBB13_16:                              ;   in Loop: Header=BB13_4 Depth=1
	s_wait_storecnt 0x0
	s_barrier_signal -1
	s_barrier_wait -1
	s_and_saveexec_b32 s8, s0
	s_cbranch_execz .LBB13_19
; %bb.17:                               ;   in Loop: Header=BB13_4 Depth=1
	v_mov_b32_e32 v0, v70
	s_bfe_u32 s7, s7, 0x80010
	s_mov_b32 s9, 0
	s_mulk_i32 s7, 0x700
                                        ; implicit-def: $vgpr1
.LBB13_18:                              ;   Parent Loop BB13_4 Depth=1
                                        ; =>  This Inner Loop Header: Depth=2
	s_delay_alu instid0(VALU_DEP_1) | instskip(SKIP_4) | instid1(SALU_CYCLE_1)
	v_add_nc_u32_e32 v0, s6, v0
	ds_store_b32 v1, v18
	v_add_nc_u32_e32 v1, s7, v1
	v_cmp_lt_u32_e32 vcc_lo, 31, v0
	s_or_b32 s9, vcc_lo, s9
	s_and_not1_b32 exec_lo, exec_lo, s9
	s_cbranch_execnz .LBB13_18
.LBB13_19:                              ;   in Loop: Header=BB13_4 Depth=1
	s_or_b32 exec_lo, exec_lo, s8
	s_and_saveexec_b32 s6, s1
	s_cbranch_execz .LBB13_21
; %bb.20:                               ;   in Loop: Header=BB13_4 Depth=1
	ds_store_b64 v0, v[20:21]
	s_trap 2
.LBB13_21:                              ;   in Loop: Header=BB13_4 Depth=1
	s_or_b32 exec_lo, exec_lo, s6
	s_and_saveexec_b32 s6, s2
	s_cbranch_execz .LBB13_23
; %bb.22:                               ;   in Loop: Header=BB13_4 Depth=1
	ds_store_b32 v0, v18
	s_trap 2
.LBB13_23:                              ;   in Loop: Header=BB13_4 Depth=1
	s_or_b32 exec_lo, exec_lo, s6
	s_wait_dscnt 0x0
	s_barrier_signal -1
	s_barrier_wait -1
	s_and_saveexec_b32 s6, s3
	s_delay_alu instid0(SALU_CYCLE_1)
	s_xor_b32 s22, exec_lo, s6
	s_cbranch_execz .LBB13_259
; %bb.24:                               ;   in Loop: Header=BB13_4 Depth=1
	s_and_saveexec_b32 s23, s4
	s_cbranch_execz .LBB13_258
; %bb.25:                               ;   in Loop: Header=BB13_4 Depth=1
	s_trap 2
	ds_load_b128 v[0:3], v0
	s_mov_b32 s6, 0
.LBB13_26:                              ;   Parent Loop BB13_4 Depth=1
                                        ; =>  This Inner Loop Header: Depth=2
	s_mov_b64 s[8:9], src_shared_base
	s_cmp_lg_u32 s18, -1
	s_cselect_b32 s8, s18, 0
	s_cselect_b32 s9, s9, 0
	flat_load_b32 v4, v18, s[8:9] scope:SCOPE_SYS
	s_wait_loadcnt 0x0
	s_trap 2
	s_wait_dscnt 0x0
	v_cmp_ne_u32_e32 vcc_lo, 0, v4
	s_or_b32 s6, vcc_lo, s6
	s_wait_xcnt 0x0
	s_and_not1_b32 exec_lo, exec_lo, s6
	s_cbranch_execnz .LBB13_26
; %bb.27:                               ;   in Loop: Header=BB13_4 Depth=1
	s_or_b32 exec_lo, exec_lo, s6
	v_lshlrev_b32_e32 v4, 5, v4
	s_trap 2
	v_mov_b32_e32 v19, 0x800
	s_mov_b32 s6, exec_lo
	s_delay_alu instid0(VALU_DEP_2) | instskip(NEXT) | instid1(VALU_DEP_1)
	v_sub_nc_u32_e32 v5, 0, v4
	v_max_i32_e32 v5, v4, v5
	s_delay_alu instid0(VALU_DEP_1) | instskip(SKIP_1) | instid1(VALU_DEP_2)
	v_cvt_f32_u32_e32 v6, v5
	v_dual_sub_nc_u32 v7, 0, v5 :: v_dual_ashrrev_i32 v4, 31, v4
	v_rcp_iflag_f32_e32 v6, v6
	v_nop
	s_delay_alu instid0(TRANS32_DEP_1) | instskip(NEXT) | instid1(VALU_DEP_1)
	v_mul_f32_e32 v6, 0x4f7ffffe, v6
	v_cvt_u32_f32_e32 v6, v6
	s_delay_alu instid0(VALU_DEP_1) | instskip(NEXT) | instid1(VALU_DEP_1)
	v_mul_lo_u32 v7, v7, v6
	v_mul_hi_u32 v7, v6, v7
	s_delay_alu instid0(VALU_DEP_1) | instskip(NEXT) | instid1(VALU_DEP_1)
	v_add_nc_u32_e32 v6, v6, v7
	v_lshrrev_b32_e32 v6, 25, v6
	s_delay_alu instid0(VALU_DEP_1) | instskip(NEXT) | instid1(VALU_DEP_1)
	v_mul_lo_u32 v7, v6, v5
	v_sub_nc_u32_e32 v7, 0x80, v7
	s_delay_alu instid0(VALU_DEP_1) | instskip(SKIP_2) | instid1(VALU_DEP_1)
	v_sub_nc_u32_e32 v9, v7, v5
	v_cmp_ge_u32_e32 vcc_lo, v7, v5
	v_add_nc_u32_e32 v8, 1, v6
	v_dual_cndmask_b32 v6, v6, v8 :: v_dual_cndmask_b32 v7, v7, v9
	s_delay_alu instid0(VALU_DEP_1) | instskip(NEXT) | instid1(VALU_DEP_2)
	v_add_nc_u32_e32 v8, 1, v6
	v_cmp_ge_u32_e32 vcc_lo, v7, v5
	s_delay_alu instid0(VALU_DEP_2) | instskip(NEXT) | instid1(VALU_DEP_1)
	v_cndmask_b32_e32 v5, v6, v8, vcc_lo
	v_xor_b32_e32 v5, v5, v4
	s_delay_alu instid0(VALU_DEP_1) | instskip(NEXT) | instid1(VALU_DEP_1)
	v_sub_nc_u32_e32 v28, v5, v4
	v_bfe_i32 v5, v28, 25, 2
	s_delay_alu instid0(VALU_DEP_1) | instskip(NEXT) | instid1(VALU_DEP_1)
	v_dual_lshlrev_b32 v30, 5, v28 :: v_dual_bitop2_b32 v5, 1, v5 bitop3:0x54
	v_cvt_f32_i32_e32 v7, v30
	s_delay_alu instid0(VALU_DEP_1) | instskip(SKIP_1) | instid1(TRANS32_DEP_1)
	v_rcp_iflag_f32_e32 v8, v7
	v_nop
	v_mul_f32_e32 v4, v71, v8
	s_delay_alu instid0(VALU_DEP_1) | instskip(NEXT) | instid1(VALU_DEP_1)
	v_trunc_f32_e32 v4, v4
	v_fma_f32 v6, -v4, v7, v71
	v_cvt_i32_f32_e32 v4, v4
	s_delay_alu instid0(VALU_DEP_2) | instskip(SKIP_1) | instid1(VALU_DEP_1)
	v_cmp_ge_f32_e64 vcc_lo, |v6|, |v7|
	v_cndmask_b32_e32 v5, 0, v5, vcc_lo
	v_add_nc_u32_e32 v4, v4, v5
	s_delay_alu instid0(VALU_DEP_1) | instskip(SKIP_2) | instid1(VALU_DEP_1)
	v_bfe_i32 v29, v4, 0, 16
	ds_load_b64 v[4:5], v0
	v_mul_lo_u32 v6, v30, v29
	v_sub_nc_u32_e32 v85, v70, v6
	s_delay_alu instid0(VALU_DEP_1)
	v_cmpx_gt_i32_e32 5, v85
	s_cbranch_execz .LBB13_29
; %bb.28:                               ;   in Loop: Header=BB13_4 Depth=1
	global_load_b32 v9, v85, s[14:15] scale_offset
	s_wait_loadcnt 0x0
	v_or_b32_e32 v19, 0x800, v9
.LBB13_29:                              ;   in Loop: Header=BB13_4 Depth=1
	s_wait_xcnt 0x0
	s_or_b32 exec_lo, exec_lo, s6
	ds_load_b32 v10, v0
	v_lshlrev_b64_e64 v[12:13], v85, 1
	v_cmp_gt_i32_e64 s6, 32, v85
	s_trap 2
	s_wait_dscnt 0x0
	v_ashrrev_i32_e32 v11, 31, v10
	v_readfirstlane_b32 s7, v10
	s_delay_alu instid0(VALU_DEP_2) | instskip(SKIP_1) | instid1(SALU_CYCLE_1)
	v_cmp_lt_u64_e32 vcc_lo, v[12:13], v[10:11]
	s_and_b32 s8, s6, vcc_lo
	s_and_saveexec_b32 s6, s8
	s_cbranch_execz .LBB13_31
; %bb.30:                               ;   in Loop: Header=BB13_4 Depth=1
	s_cvt_f32_u32 s8, s7
	ds_load_b32 v31, v0
	s_sub_co_i32 s9, 0, s7
	s_trap 2
	v_rcp_iflag_f32_e32 v9, s8
	v_nop
	s_delay_alu instid0(TRANS32_DEP_1) | instskip(SKIP_2) | instid1(SALU_CYCLE_3)
	v_readfirstlane_b32 s8, v9
	v_lshlrev_b32_e64 v9, v85, 1
	s_mul_f32 s8, s8, 0x4f7ffffe
	s_cvt_u32_f32 s8, s8
	s_wait_dscnt 0x0
	s_delay_alu instid0(VALU_DEP_1) | instskip(NEXT) | instid1(SALU_CYCLE_1)
	v_dual_add_nc_u32 v12, v31, v9 :: v_dual_sub_nc_u32 v9, s7, v9
	s_mul_i32 s9, s9, s8
	s_delay_alu instid0(SALU_CYCLE_1) | instskip(NEXT) | instid1(VALU_DEP_1)
	s_mul_hi_u32 s9, s8, s9
	v_add_nc_u32_e32 v9, v9, v31
	s_add_co_i32 s10, s8, s9
	s_delay_alu instid0(SALU_CYCLE_1) | instskip(NEXT) | instid1(VALU_DEP_1)
	v_mul_hi_u32 v10, v12, s10
	v_mul_lo_u32 v13, v10, s7
	ds_load_b64 v[10:11], v0
	v_sub_nc_u32_e32 v12, v12, v13
	s_delay_alu instid0(VALU_DEP_1) | instskip(SKIP_3) | instid1(VALU_DEP_3)
	v_subrev_nc_u32_e32 v13, s7, v12
	v_cmp_le_u32_e32 vcc_lo, s7, v12
	s_wait_dscnt 0x0
	v_readfirstlane_b32 s8, v10
	v_cndmask_b32_e32 v12, v12, v13, vcc_lo
	v_readfirstlane_b32 s9, v11
	s_delay_alu instid0(VALU_DEP_2) | instskip(SKIP_1) | instid1(VALU_DEP_2)
	v_subrev_nc_u32_e32 v13, s7, v12
	v_cmp_le_u32_e32 vcc_lo, s7, v12
	v_cndmask_b32_e32 v10, v12, v13, vcc_lo
	flat_load_b64 v[14:15], v10, s[8:9] scale_offset
	s_wait_loadcnt_dscnt 0x0
	flat_load_b64 v[10:11], v[14:15] offset:608
	v_add_nc_u64_e32 v[12:13], 0x1f8, v[14:15]
	s_wait_loadcnt_dscnt 0x0
	ds_store_2addr_b64 v0, v[10:11], v[12:13] offset1:1
	s_clause 0x1
	flat_load_b64 v[16:17], v[14:15] offset:520
	flat_load_b128 v[10:13], v[14:15] offset:552
	s_wait_loadcnt_dscnt 0x101
	ds_store_b64 v0, v[16:17]
	s_wait_loadcnt_dscnt 0x1
	ds_store_b64 v0, v[10:11]
	flat_load_b64 v[10:11], v[10:11] scope:SCOPE_SYS
	v_mul_hi_u32 v16, v9, s10
	v_mov_b32_e32 v17, v18
	s_delay_alu instid0(VALU_DEP_2) | instskip(NEXT) | instid1(VALU_DEP_1)
	v_mul_lo_u32 v16, v16, s7
	v_sub_nc_u32_e32 v9, v9, v16
	s_delay_alu instid0(VALU_DEP_1) | instskip(SKIP_1) | instid1(VALU_DEP_2)
	v_subrev_nc_u32_e32 v16, s7, v9
	v_cmp_le_u32_e32 vcc_lo, s7, v9
	v_dual_cndmask_b32 v9, v9, v16 :: v_dual_mov_b32 v16, v18
	s_delay_alu instid0(VALU_DEP_1) | instskip(SKIP_1) | instid1(VALU_DEP_2)
	v_subrev_nc_u32_e32 v31, s7, v9
	v_cmp_le_u32_e32 vcc_lo, s7, v9
	v_cndmask_b32_e32 v9, v9, v31, vcc_lo
	s_wait_loadcnt_dscnt 0x0
	ds_store_2addr_b64 v0, v[10:11], v[16:17] offset1:1
	flat_load_b64 v[16:17], v9, s[8:9] scale_offset
	s_wait_loadcnt_dscnt 0x0
	flat_load_b64 v[10:11], v[16:17] offset:104
	flat_load_b32 v9, v[14:15] offset:576
	s_wait_loadcnt_dscnt 0x101
	ds_store_2addr_b64 v0, v[10:11], v[16:17] offset1:1
	s_clause 0x1
	flat_load_b64 v[10:11], v[16:17] offset:96
	flat_load_b64 v[14:15], v[16:17] offset:16
	ds_store_b64 v0, v[12:13]
	s_wait_loadcnt_dscnt 0x1
	ds_store_2addr_b64 v0, v[10:11], v[14:15] offset1:1
	flat_load_b128 v[10:13], v[16:17] offset:48
	ds_store_b32 v0, v9
	s_wait_loadcnt_dscnt 0x1
	ds_store_b64 v0, v[12:13]
	flat_load_b64 v[12:13], v[12:13] scope:SCOPE_SYS
	s_wait_loadcnt_dscnt 0x0
	ds_store_2addr_b64 v0, v[10:11], v[12:13] offset1:1
	flat_load_b32 v9, v[16:17] offset:72
	ds_store_b64 v0, v[20:21]
	s_wait_loadcnt_dscnt 0x1
	ds_store_b32 v0, v9
.LBB13_31:                              ;   in Loop: Header=BB13_4 Depth=1
	s_or_b32 exec_lo, exec_lo, s6
	s_delay_alu instid0(SALU_CYCLE_1)
	s_mov_b32 s6, exec_lo
	s_trap 2
	v_cmpx_eq_u32_e32 0, v85
	s_cbranch_execz .LBB13_33
; %bb.32:                               ;   in Loop: Header=BB13_4 Depth=1
	ds_store_2addr_b64 v0, v[2:3], v[0:1] offset0:87 offset1:88
	ds_store_b64 v0, v[4:5]
	s_trap 2
.LBB13_33:                              ;   in Loop: Header=BB13_4 Depth=1
	s_or_b32 exec_lo, exec_lo, s6
	s_wait_kmcnt 0x0
	v_cmp_ne_u32_e64 s6, s16, v30
                                        ; implicit-def: $sgpr24
                                        ; implicit-def: $vgpr32_vgpr33
	s_and_saveexec_b32 s7, s6
	s_delay_alu instid0(SALU_CYCLE_1)
	s_xor_b32 s7, exec_lo, s7
	s_cbranch_execz .LBB13_49
; %bb.34:                               ;   in Loop: Header=BB13_4 Depth=1
	v_mov_b64_e32 v[32:33], 0
	s_mov_b32 s24, 0
	s_and_saveexec_b32 s8, s5
	s_cbranch_execz .LBB13_48
; %bb.35:                               ;   in Loop: Header=BB13_4 Depth=1
	s_mov_b32 s10, exec_lo
	s_mov_b32 s9, exec_lo
	v_mbcnt_lo_u32_b32 v0, s10, 0
	global_wb scope:SCOPE_DEV
	s_wait_storecnt_dscnt 0x0
	global_inv scope:SCOPE_DEV
	v_cmpx_eq_u32_e32 0, v0
	s_cbranch_execz .LBB13_37
; %bb.36:                               ;   in Loop: Header=BB13_4 Depth=1
	s_bcnt1_i32_b32 s10, s10
	s_delay_alu instid0(SALU_CYCLE_1)
	v_dual_mov_b32 v1, v18 :: v_dual_mov_b32 v0, s10
	s_wait_loadcnt 0x0
	ds_add_u64 v0, v[0:1]
	s_trap 2
.LBB13_37:                              ;   in Loop: Header=BB13_4 Depth=1
	s_or_b32 exec_lo, exec_lo, s9
	s_trap 2
	ds_load_b64 v[0:1], v0
	s_wait_dscnt 0x0
	v_cmp_lt_u64_e32 vcc_lo, 3, v[0:1]
	s_cbranch_vccnz .LBB13_47
; %bb.38:                               ;   in Loop: Header=BB13_4 Depth=1
	s_mov_b32 s9, 0
	s_mov_b32 s12, 0
                                        ; implicit-def: $sgpr10
                                        ; implicit-def: $sgpr11
	s_branch .LBB13_40
.LBB13_39:                              ;   in Loop: Header=BB13_40 Depth=2
	s_or_b32 exec_lo, exec_lo, s25
	s_delay_alu instid0(SALU_CYCLE_1) | instskip(NEXT) | instid1(SALU_CYCLE_1)
	s_and_b32 s24, exec_lo, s26
	s_or_b32 s9, s24, s9
	s_and_not1_b32 s10, s10, exec_lo
	s_and_b32 s24, s11, exec_lo
	s_delay_alu instid0(SALU_CYCLE_1)
	s_or_b32 s10, s10, s24
	s_and_not1_b32 exec_lo, exec_lo, s9
	s_cbranch_execz .LBB13_44
.LBB13_40:                              ;   Parent Loop BB13_4 Depth=1
                                        ; =>  This Inner Loop Header: Depth=2
	s_add_co_i32 s12, s12, 1
	s_delay_alu instid0(SALU_CYCLE_1) | instskip(SKIP_1) | instid1(SALU_CYCLE_1)
	s_cmp_lg_u32 s12, 0x2710
	s_cselect_b32 s24, -1, 0
	s_and_b32 vcc_lo, exec_lo, s24
	s_cbranch_vccz .LBB13_42
; %bb.41:                               ;   in Loop: Header=BB13_40 Depth=2
	s_mov_b32 s26, -1
	s_or_b32 s11, s11, exec_lo
	s_and_saveexec_b32 s25, s24
	s_cbranch_execz .LBB13_39
	s_branch .LBB13_43
.LBB13_42:                              ;   in Loop: Header=BB13_40 Depth=2
	s_trap 2
	ds_load_b64 v[0:1], v0
	s_and_not1_b32 s24, s24, exec_lo
	s_mov_b32 s12, 0
	s_wait_loadcnt_dscnt 0x0
	flat_load_b32 v0, v[0:1] scope:SCOPE_SYS
	s_wait_loadcnt_dscnt 0x0
	global_inv scope:SCOPE_SYS
	v_cmp_eq_u32_e32 vcc_lo, 0, v0
	s_and_b32 s25, vcc_lo, exec_lo
	s_delay_alu instid0(SALU_CYCLE_1)
	s_or_b32 s24, s24, s25
	s_mov_b32 s26, -1
	s_or_b32 s11, s11, exec_lo
	s_and_saveexec_b32 s25, s24
	s_cbranch_execz .LBB13_39
.LBB13_43:                              ;   in Loop: Header=BB13_40 Depth=2
	s_sleep 1
	s_trap 2
	ds_load_b64 v[0:1], v0
	s_wait_dscnt 0x0
	s_and_not1_b32 s11, s11, exec_lo
	v_cmp_lt_u64_e32 vcc_lo, 3, v[0:1]
	s_or_not1_b32 s26, vcc_lo, exec_lo
	s_branch .LBB13_39
.LBB13_44:                              ;   in Loop: Header=BB13_4 Depth=1
	s_or_b32 exec_lo, exec_lo, s9
	s_and_saveexec_b32 s9, s10
	s_delay_alu instid0(SALU_CYCLE_1)
	s_xor_b32 s9, exec_lo, s9
	s_cbranch_execz .LBB13_46
; %bb.45:                               ;   in Loop: Header=BB13_4 Depth=1
	ds_store_b32 v0, v80
	s_trap 2
.LBB13_46:                              ;   in Loop: Header=BB13_4 Depth=1
	s_or_b32 exec_lo, exec_lo, s9
.LBB13_47:                              ;   in Loop: Header=BB13_4 Depth=1
	v_mov_b64_e32 v[32:33], 4
	s_mov_b32 s24, exec_lo
	;;#ASMSTART
	s_wakeup
	;;#ASMEND
.LBB13_48:                              ;   in Loop: Header=BB13_4 Depth=1
	s_or_b32 exec_lo, exec_lo, s8
.LBB13_49:                              ;   in Loop: Header=BB13_4 Depth=1
	s_and_not1_saveexec_b32 s7, s7
	s_cbranch_execz .LBB13_51
; %bb.50:                               ;   in Loop: Header=BB13_4 Depth=1
	v_mov_b64_e32 v[32:33], 0
	s_and_not1_b32 s8, s24, exec_lo
	s_and_b32 s9, s5, exec_lo
	global_wb scope:SCOPE_DEV
	s_wait_storecnt 0x0
	s_wait_loadcnt_dscnt 0x0
	global_inv scope:SCOPE_DEV
	s_or_b32 s24, s8, s9
	s_barrier_signal -1
	s_barrier_wait -1
.LBB13_51:                              ;   in Loop: Header=BB13_4 Depth=1
	s_or_b32 exec_lo, exec_lo, s7
	v_dual_mul_f32 v0, 0x43000000, v8 :: v_dual_ashrrev_i32 v1, 31, v85
	v_ashrrev_i32_e32 v2, 30, v30
	v_and_b32_e32 v3, 0x7fffffff, v7
	v_cmp_eq_u32_e64 s8, v70, v6
	s_delay_alu instid0(VALU_DEP_4) | instskip(NEXT) | instid1(VALU_DEP_4)
	v_trunc_f32_e32 v0, v0
	v_dual_lshrrev_b32 v1, 27, v1 :: v_dual_bitop2_b32 v2, 1, v2 bitop3:0x54
	s_mov_b32 s25, 0
                                        ; implicit-def: $vgpr38_vgpr39
	v_lshlrev_b32_e32 v34, 11, v28
	s_delay_alu instid0(VALU_DEP_3) | instskip(NEXT) | instid1(VALU_DEP_3)
	v_fma_f32 v4, -v0, v7, 0x43000000
	v_add_nc_u32_e32 v1, v85, v1
	v_cvt_i32_f32_e32 v0, v0
	s_delay_alu instid0(VALU_DEP_4) | instskip(NEXT) | instid1(VALU_DEP_4)
	v_dual_lshlrev_b32 v36, 9, v28 :: v_dual_ashrrev_i32 v35, 31, v34
	v_cmp_ge_f32_e64 vcc_lo, |v4|, v3
	s_delay_alu instid0(VALU_DEP_4) | instskip(NEXT) | instid1(VALU_DEP_3)
	v_and_b32_e32 v3, 0xffffffe0, v1
	v_dual_ashrrev_i32 v86, 5, v1 :: v_dual_ashrrev_i32 v37, 31, v36
	v_ashrrev_i32_e32 v31, 31, v30
	s_delay_alu instid0(VALU_DEP_3) | instskip(NEXT) | instid1(VALU_DEP_3)
	v_dual_cndmask_b32 v2, 0, v2 :: v_dual_sub_nc_u32 v87, v85, v3
	v_lshlrev_b32_e32 v1, 11, v86
	s_delay_alu instid0(VALU_DEP_2) | instskip(NEXT) | instid1(VALU_DEP_3)
	v_add_nc_u32_e32 v0, v0, v2
	v_cmp_gt_i32_e64 s7, 1, v87
	s_delay_alu instid0(VALU_DEP_2) | instskip(NEXT) | instid1(VALU_DEP_4)
	v_bfe_i32 v96, v0, 0, 16
	v_lshl_add_u32 v0, v87, 4, v1
	s_delay_alu instid0(VALU_DEP_1) | instskip(SKIP_3) | instid1(VALU_DEP_4)
	v_ashrrev_i32_e32 v1, 31, v0
	v_add_nc_u32_e32 v97, 0x318, v0
	v_add_nc_u32_e32 v98, 0x310, v0
	v_lshl_add_u32 v99, v87, 3, v0
	v_add_nc_u64_e32 v[48:49], 0x600, v[0:1]
	s_branch .LBB13_53
.LBB13_52:                              ;   in Loop: Header=BB13_53 Depth=2
	s_or_b32 exec_lo, exec_lo, s9
	s_wait_dscnt 0x0
	v_cmp_ne_u32_e32 vcc_lo, 0, v100
	v_add_nc_u32_e32 v29, v29, v96
	s_or_b32 s25, vcc_lo, s25
	s_delay_alu instid0(SALU_CYCLE_1)
	s_and_not1_b32 exec_lo, exec_lo, s25
	s_cbranch_execz .LBB13_229
.LBB13_53:                              ;   Parent Loop BB13_4 Depth=1
                                        ; =>  This Loop Header: Depth=2
                                        ;       Child Loop BB13_54 Depth 3
                                        ;       Child Loop BB13_86 Depth 3
	;; [unrolled: 1-line block ×12, first 2 shown]
	s_mov_b32 s9, 0
	s_trap 2
.LBB13_54:                              ;   Parent Loop BB13_4 Depth=1
                                        ;     Parent Loop BB13_53 Depth=2
                                        ; =>    This Inner Loop Header: Depth=3
	ds_load_b32 v0, v0 offset:36
	s_wait_dscnt 0x0
	v_cmp_ne_u32_e32 vcc_lo, 0, v0
	s_or_b32 s9, vcc_lo, s9
	s_delay_alu instid0(SALU_CYCLE_1)
	s_and_not1_b32 exec_lo, exec_lo, s9
	s_cbranch_execnz .LBB13_54
; %bb.55:                               ;   in Loop: Header=BB13_53 Depth=2
	s_or_b32 exec_lo, exec_lo, s9
	ds_load_b32 v100, v0 offset:32
	v_and_b32_e32 v0, 2, v0
	s_mov_b32 s9, exec_lo
	s_delay_alu instid0(VALU_DEP_1)
	v_cmpx_ne_u32_e32 0, v0
	s_xor_b32 s9, exec_lo, s9
	s_cbranch_execnz .LBB13_58
; %bb.56:                               ;   in Loop: Header=BB13_53 Depth=2
	s_and_not1_saveexec_b32 s26, s9
	s_cbranch_execnz .LBB13_64
.LBB13_57:                              ;   in Loop: Header=BB13_53 Depth=2
	s_or_b32 exec_lo, exec_lo, s26
	s_and_saveexec_b32 s9, s8
	s_cbranch_execz .LBB13_52
	s_branch .LBB13_203
.LBB13_58:                              ;   in Loop: Header=BB13_53 Depth=2
	s_and_saveexec_b32 s10, s6
	s_delay_alu instid0(SALU_CYCLE_1)
	s_xor_b32 s10, exec_lo, s10
	s_cbranch_execnz .LBB13_80
; %bb.59:                               ;   in Loop: Header=BB13_53 Depth=2
	s_and_not1_saveexec_b32 s10, s10
	s_cbranch_execnz .LBB13_153
.LBB13_60:                              ;   in Loop: Header=BB13_53 Depth=2
	s_or_b32 exec_lo, exec_lo, s10
	s_and_saveexec_b32 s10, s6
	s_delay_alu instid0(SALU_CYCLE_1)
	s_xor_b32 s10, exec_lo, s10
	s_cbranch_execnz .LBB13_154
.LBB13_61:                              ;   in Loop: Header=BB13_53 Depth=2
	s_and_not1_saveexec_b32 s10, s10
	s_cbranch_execz .LBB13_63
.LBB13_62:                              ;   in Loop: Header=BB13_53 Depth=2
	global_wb scope:SCOPE_DEV
	s_wait_storecnt 0x0
	s_wait_loadcnt_dscnt 0x0
	global_inv scope:SCOPE_DEV
	s_barrier_signal -1
	s_barrier_wait -1
.LBB13_63:                              ;   in Loop: Header=BB13_53 Depth=2
	s_or_b32 exec_lo, exec_lo, s10
	s_and_not1_saveexec_b32 s26, s9
	s_cbranch_execz .LBB13_57
.LBB13_64:                              ;   in Loop: Header=BB13_53 Depth=2
	ds_load_b64 v[4:5], v0
	ds_load_2addr_b64 v[0:3], v0 offset0:87 offset1:88
	v_dual_mov_b32 v101, -1 :: v_dual_bitop2_b32 v7, 36, v19 bitop3:0x40
	s_wait_dscnt 0x0
	ds_load_b32 v6, v0 offset:28
	ds_load_2addr_b32 v[52:53], v0 offset0:5 offset1:6
	v_cmp_lt_i32_e32 vcc_lo, -1, v4
	v_cmp_ne_u32_e64 s9, 0, v7
	s_and_b32 s27, vcc_lo, s9
	s_delay_alu instid0(SALU_CYCLE_1)
	s_and_saveexec_b32 s9, s27
	s_cbranch_execz .LBB13_66
; %bb.65:                               ;   in Loop: Header=BB13_53 Depth=2
	s_trap 2
	ds_load_b64 v[38:39], v0
                                        ; implicit-def: $vgpr101
.LBB13_66:                              ;   in Loop: Header=BB13_53 Depth=2
	s_or_b32 exec_lo, exec_lo, s9
	v_and_b32_e32 v4, 24, v19
	v_cmp_lt_i32_e32 vcc_lo, -1, v5
	s_delay_alu instid0(VALU_DEP_2) | instskip(SKIP_1) | instid1(SALU_CYCLE_1)
	v_cmp_ne_u32_e64 s9, 0, v4
	s_and_b32 s28, vcc_lo, s9
	s_and_saveexec_b32 s9, s28
	s_cbranch_execz .LBB13_68
; %bb.67:                               ;   in Loop: Header=BB13_53 Depth=2
	s_trap 2
	s_wait_dscnt 0x0
	ds_load_b64 v[38:39], v0
                                        ; implicit-def: $vgpr101
.LBB13_68:                              ;   in Loop: Header=BB13_53 Depth=2
	s_or_b32 exec_lo, exec_lo, s9
	v_and_b32_e32 v4, 4, v19
	s_wait_dscnt 0x0
	v_add_nc_u64_e32 v[54:55], 1, v[38:39]
	v_max_i32_e32 v50, 0, v6
	s_delay_alu instid0(VALU_DEP_3) | instskip(SKIP_1) | instid1(SALU_CYCLE_1)
	v_cmp_ne_u32_e32 vcc_lo, 0, v4
	s_and_b32 s9, s27, vcc_lo
	s_and_saveexec_b32 s10, s9
	s_cbranch_execz .LBB13_98
; %bb.69:                               ;   in Loop: Header=BB13_53 Depth=2
	ds_load_2addr_b32 v[4:5], v0 offset0:2 offset1:4
	ds_load_2addr_b64 v[10:13], v101 offset0:3 offset1:6
	ds_load_b32 v9, v101 offset:64
	s_mov_b32 s11, exec_lo
	s_wait_dscnt 0x2
	v_dual_add_nc_u32 v6, v38, v5 :: v_dual_mov_b32 v8, v5
	s_delay_alu instid0(VALU_DEP_1) | instskip(SKIP_2) | instid1(VALU_DEP_2)
	v_and_b32_e32 v14, 7, v6
	v_add_nc_u64_e32 v[6:7], 1, v[38:39]
	s_wait_dscnt 0x0
	v_mad_nc_i64_i32 v[10:11], v14, v9, v[10:11]
	v_dual_ashrrev_i32 v9, 31, v5 :: v_dual_ashrrev_i32 v5, 31, v4
	s_delay_alu instid0(VALU_DEP_1) | instskip(NEXT) | instid1(VALU_DEP_2)
	v_add_nc_u64_e32 v[14:15], v[6:7], v[8:9]
	v_add_nc_u64_e32 v[10:11], v[10:11], v[4:5]
	v_mov_b64_e32 v[4:5], v[8:9]
	ds_store_b64 v0, v[10:11] offset:720
	v_cmpx_lt_u64_e64 v[12:13], v[14:15]
	s_cbranch_execz .LBB13_93
; %bb.70:                               ;   in Loop: Header=BB13_53 Depth=2
	v_and_b32_e32 v9, 64, v19
	s_mov_b32 s12, 0
	s_mov_b32 s42, 0
                                        ; implicit-def: $sgpr29
                                        ; implicit-def: $sgpr40
                                        ; implicit-def: $sgpr41
	s_delay_alu instid0(VALU_DEP_1)
	v_cmp_eq_u32_e32 vcc_lo, 0, v9
	s_branch .LBB13_73
.LBB13_71:                              ;   in Loop: Header=BB13_73 Depth=3
	s_or_b32 exec_lo, exec_lo, s47
	s_delay_alu instid0(SALU_CYCLE_1)
	s_and_not1_b32 s9, s41, exec_lo
	s_and_b32 s41, s45, exec_lo
	s_and_not1_b32 s40, s40, exec_lo
	s_and_b32 s44, s44, exec_lo
	s_or_b32 s41, s9, s41
	s_or_b32 s40, s40, s44
.LBB13_72:                              ;   in Loop: Header=BB13_73 Depth=3
	s_or_b32 exec_lo, exec_lo, s43
	s_delay_alu instid0(SALU_CYCLE_1) | instskip(NEXT) | instid1(SALU_CYCLE_1)
	s_and_b32 s9, exec_lo, s40
	s_or_b32 s12, s9, s12
	s_and_not1_b32 s9, s29, exec_lo
	s_and_b32 s29, s41, exec_lo
	s_delay_alu instid0(SALU_CYCLE_1)
	s_or_b32 s29, s9, s29
	s_and_not1_b32 exec_lo, exec_lo, s12
	s_cbranch_execz .LBB13_90
.LBB13_73:                              ;   Parent Loop BB13_4 Depth=1
                                        ;     Parent Loop BB13_53 Depth=2
                                        ; =>    This Inner Loop Header: Depth=3
	ds_load_b64 v[10:11], v101 offset:40
	s_or_b32 s41, s41, exec_lo
	s_or_b32 s40, s40, exec_lo
                                        ; implicit-def: $vgpr14
	s_wait_dscnt 0x0
	flat_load_b64 v[12:13], v[10:11] scope:SCOPE_SYS
	s_wait_xcnt 0x0
	v_mov_b64_e32 v[10:11], v[4:5]
	s_wait_loadcnt_dscnt 0x0
	ds_store_b64 v101, v[12:13] offset:48
	s_and_saveexec_b32 s43, vcc_lo
	s_cbranch_execz .LBB13_72
; %bb.74:                               ;   in Loop: Header=BB13_73 Depth=3
	s_cmp_gt_i32 s42, 0x270e
	s_mov_b32 s44, -1
	s_cbranch_scc0 .LBB13_78
; %bb.75:                               ;   in Loop: Header=BB13_73 Depth=3
	s_trap 2
	ds_load_b64 v[8:9], v0
	s_mov_b32 s45, 0
	s_mov_b32 s46, 0
	s_mov_b32 s42, exec_lo
                                        ; implicit-def: $vgpr12_vgpr13
	s_wait_dscnt 0x0
	flat_load_b32 v14, v[8:9] scope:SCOPE_SYS
	s_wait_loadcnt_dscnt 0x0
	global_inv scope:SCOPE_SYS
                                        ; implicit-def: $vgpr8
	s_wait_xcnt 0x0
	v_cmpx_eq_u32_e32 0, v14
	s_cbranch_execz .LBB13_77
; %bb.76:                               ;   in Loop: Header=BB13_73 Depth=3
	ds_load_b64 v[12:13], v101 offset:48
	ds_load_b32 v8, v0 offset:16
	s_mov_b32 s46, exec_lo
.LBB13_77:                              ;   in Loop: Header=BB13_73 Depth=3
	s_or_b32 exec_lo, exec_lo, s42
	s_mov_b32 s42, 0
                                        ; implicit-def: $vgpr10_vgpr11
	s_and_saveexec_b32 s47, s46
	s_cbranch_execz .LBB13_71
	s_branch .LBB13_79
.LBB13_78:                              ;   in Loop: Header=BB13_73 Depth=3
	s_add_co_i32 s42, s42, 1
	s_mov_b32 s46, -1
	s_mov_b32 s45, -1
                                        ; implicit-def: $vgpr14
                                        ; implicit-def: $vgpr10_vgpr11
	s_and_saveexec_b32 s47, s46
	s_cbranch_execz .LBB13_71
.LBB13_79:                              ;   in Loop: Header=BB13_73 Depth=3
	s_wait_dscnt 0x0
	v_ashrrev_i32_e32 v9, 31, v8
	s_or_b32 s45, s45, exec_lo
	s_delay_alu instid0(VALU_DEP_1) | instskip(NEXT) | instid1(VALU_DEP_1)
	v_add_nc_u64_e32 v[10:11], v[6:7], v[8:9]
	v_cmp_ge_u64_e64 s9, v[12:13], v[10:11]
	v_mov_b64_e32 v[10:11], v[8:9]
	s_or_not1_b32 s44, s9, exec_lo
	s_branch .LBB13_71
.LBB13_80:                              ;   in Loop: Header=BB13_53 Depth=2
	s_and_saveexec_b32 s11, s24
	s_cbranch_execz .LBB13_152
; %bb.81:                               ;   in Loop: Header=BB13_53 Depth=2
	s_mov_b32 s26, exec_lo
	s_mov_b32 s12, exec_lo
	v_mbcnt_lo_u32_b32 v0, s26, 0
	global_wb scope:SCOPE_DEV
	s_wait_storecnt 0x0
	s_wait_loadcnt_dscnt 0x0
	global_inv scope:SCOPE_DEV
	v_cmpx_eq_u32_e32 0, v0
	s_cbranch_execz .LBB13_83
; %bb.82:                               ;   in Loop: Header=BB13_53 Depth=2
	s_bcnt1_i32_b32 s26, s26
	s_delay_alu instid0(SALU_CYCLE_1)
	v_dual_mov_b32 v1, v18 :: v_dual_mov_b32 v0, s26
	s_wait_loadcnt 0x0
	ds_add_u64 v0, v[0:1]
	s_trap 2
.LBB13_83:                              ;   in Loop: Header=BB13_53 Depth=2
	s_or_b32 exec_lo, exec_lo, s12
	s_trap 2
	ds_load_b64 v[0:1], v0
	s_wait_dscnt 0x0
	v_add_nc_u64_e32 v[32:33], 4, v[32:33]
	s_mov_b32 s12, exec_lo
	s_delay_alu instid0(VALU_DEP_1)
	v_cmpx_lt_u64_e64 v[0:1], v[32:33]
	s_cbranch_execz .LBB13_151
; %bb.84:                               ;   in Loop: Header=BB13_53 Depth=2
	s_mov_b32 s26, 0
	s_mov_b32 s29, 0
                                        ; implicit-def: $sgpr27
                                        ; implicit-def: $sgpr28
	s_branch .LBB13_86
.LBB13_85:                              ;   in Loop: Header=BB13_86 Depth=3
	s_or_b32 exec_lo, exec_lo, s41
	s_delay_alu instid0(SALU_CYCLE_1) | instskip(NEXT) | instid1(SALU_CYCLE_1)
	s_and_b32 s40, exec_lo, s42
	s_or_b32 s26, s40, s26
	s_and_not1_b32 s27, s27, exec_lo
	s_and_b32 s40, s28, exec_lo
	s_delay_alu instid0(SALU_CYCLE_1)
	s_or_b32 s27, s27, s40
	s_and_not1_b32 exec_lo, exec_lo, s26
	s_cbranch_execz .LBB13_149
.LBB13_86:                              ;   Parent Loop BB13_4 Depth=1
                                        ;     Parent Loop BB13_53 Depth=2
                                        ; =>    This Inner Loop Header: Depth=3
	s_add_co_i32 s29, s29, 1
	s_delay_alu instid0(SALU_CYCLE_1) | instskip(SKIP_1) | instid1(SALU_CYCLE_1)
	s_cmp_lg_u32 s29, 0x2710
	s_cselect_b32 s40, -1, 0
	s_and_b32 vcc_lo, exec_lo, s40
	s_cbranch_vccz .LBB13_88
; %bb.87:                               ;   in Loop: Header=BB13_86 Depth=3
	s_mov_b32 s42, -1
	s_or_b32 s28, s28, exec_lo
	s_and_saveexec_b32 s41, s40
	s_cbranch_execz .LBB13_85
	s_branch .LBB13_89
.LBB13_88:                              ;   in Loop: Header=BB13_86 Depth=3
	s_trap 2
	ds_load_b64 v[0:1], v0
	s_and_not1_b32 s40, s40, exec_lo
	s_mov_b32 s29, 0
	s_wait_loadcnt_dscnt 0x0
	flat_load_b32 v0, v[0:1] scope:SCOPE_SYS
	s_wait_loadcnt_dscnt 0x0
	global_inv scope:SCOPE_SYS
	v_cmp_eq_u32_e32 vcc_lo, 0, v0
	s_and_b32 s41, vcc_lo, exec_lo
	s_delay_alu instid0(SALU_CYCLE_1)
	s_or_b32 s40, s40, s41
	s_mov_b32 s42, -1
	s_or_b32 s28, s28, exec_lo
	s_and_saveexec_b32 s41, s40
	s_cbranch_execz .LBB13_85
.LBB13_89:                              ;   in Loop: Header=BB13_86 Depth=3
	s_sleep 1
	s_trap 2
	ds_load_b64 v[0:1], v0
	s_wait_dscnt 0x0
	s_and_not1_b32 s28, s28, exec_lo
	v_cmp_ge_u64_e32 vcc_lo, v[0:1], v[32:33]
	s_or_not1_b32 s42, vcc_lo, exec_lo
	s_branch .LBB13_85
.LBB13_90:                              ;   in Loop: Header=BB13_53 Depth=2
	s_or_b32 exec_lo, exec_lo, s12
	s_xor_b32 s9, s29, -1
	s_delay_alu instid0(SALU_CYCLE_1) | instskip(NEXT) | instid1(SALU_CYCLE_1)
	s_and_saveexec_b32 s12, s9
	s_xor_b32 s9, exec_lo, s12
	s_cbranch_execz .LBB13_92
; %bb.91:                               ;   in Loop: Header=BB13_53 Depth=2
	s_wait_loadcnt_dscnt 0x0
	ds_store_b32 v0, v14
	s_trap 2
	ds_load_b32 v10, v0 offset:16
	s_wait_dscnt 0x0
	v_dual_ashrrev_i32 v11, 31, v10 :: v_dual_bitop2_b32 v19, 64, v19 bitop3:0x54
.LBB13_92:                              ;   in Loop: Header=BB13_53 Depth=2
	s_or_b32 exec_lo, exec_lo, s9
	s_delay_alu instid0(VALU_DEP_1)
	v_mov_b64_e32 v[4:5], v[10:11]
.LBB13_93:                              ;   in Loop: Header=BB13_53 Depth=2
	s_or_b32 exec_lo, exec_lo, s11
	ds_load_b32 v6, v0 offset:8
	ds_load_b32 v10, v101 offset:64
	v_add_nc_u64_e32 v[4:5], v[38:39], v[4:5]
	s_wait_dscnt 0x2
	ds_load_b64 v[8:9], v101 offset:56
	s_mov_b32 s9, exec_lo
	s_wait_dscnt 0x2
	v_add_nc_u32_e32 v6, v6, v50
	s_delay_alu instid0(VALU_DEP_1) | instskip(SKIP_1) | instid1(VALU_DEP_1)
	v_ashrrev_i32_e32 v7, 31, v6
	s_wait_dscnt 0x1
	v_mad_nc_u64_u32 v[6:7], v4, v10, v[6:7]
	s_delay_alu instid0(VALU_DEP_1) | instskip(SKIP_1) | instid1(VALU_DEP_1)
	v_mad_u32 v5, v5, v10, v7
	v_ashrrev_i32_e32 v7, 31, v10
	v_mad_u32 v7, v4, v7, v5
                                        ; implicit-def: $vgpr4_vgpr5
	s_wait_dscnt 0x0
	s_delay_alu instid0(VALU_DEP_1)
	v_cmpx_ge_u64_e64 v[8:9], v[6:7]
	s_xor_b32 s9, exec_lo, s9
; %bb.94:                               ;   in Loop: Header=BB13_53 Depth=2
	ds_load_b64 v[4:5], v0 offset:720
; %bb.95:                               ;   in Loop: Header=BB13_53 Depth=2
	s_and_not1_saveexec_b32 s9, s9
	s_cbranch_execz .LBB13_97
; %bb.96:                               ;   in Loop: Header=BB13_53 Depth=2
	s_wait_dscnt 0x0
	ds_load_b64 v[4:5], v0 offset:48
	s_wait_dscnt 0x0
	v_add_nc_u64_e32 v[4:5], v[2:3], v[4:5]
.LBB13_97:                              ;   in Loop: Header=BB13_53 Depth=2
	s_or_b32 exec_lo, exec_lo, s9
	s_wait_dscnt 0x0
	ds_store_b64 v97, v[4:5]
.LBB13_98:                              ;   in Loop: Header=BB13_53 Depth=2
	s_or_b32 exec_lo, exec_lo, s10
	v_and_b32_e32 v4, 8, v19
	s_delay_alu instid0(VALU_DEP_1) | instskip(SKIP_1) | instid1(SALU_CYCLE_1)
	v_cmp_ne_u32_e32 vcc_lo, 0, v4
	s_and_b32 s9, s28, vcc_lo
	s_and_saveexec_b32 s10, s9
	s_cbranch_execz .LBB13_114
; %bb.99:                               ;   in Loop: Header=BB13_53 Depth=2
	ds_load_b64 v[4:5], v101 offset:48
	s_mov_b32 s11, exec_lo
	s_wait_dscnt 0x0
	v_add_nc_u64_e32 v[6:7], 8, v[4:5]
	v_add_nc_u64_e32 v[4:5], 1, v[38:39]
	s_delay_alu instid0(VALU_DEP_1)
	v_cmpx_lt_u64_e64 v[6:7], v[4:5]
	s_cbranch_execz .LBB13_113
; %bb.100:                              ;   in Loop: Header=BB13_53 Depth=2
	v_and_b32_e32 v6, 64, v19
	s_mov_b32 s12, 0
	s_mov_b32 s42, 0
                                        ; implicit-def: $sgpr29
                                        ; implicit-def: $sgpr40
                                        ; implicit-def: $sgpr41
	s_delay_alu instid0(VALU_DEP_1)
	v_cmp_eq_u32_e32 vcc_lo, 0, v6
	s_branch .LBB13_103
.LBB13_101:                             ;   in Loop: Header=BB13_103 Depth=3
	s_or_b32 exec_lo, exec_lo, s47
	s_delay_alu instid0(SALU_CYCLE_1)
	s_and_not1_b32 s9, s41, exec_lo
	s_and_b32 s41, s45, exec_lo
	s_and_not1_b32 s40, s40, exec_lo
	s_and_b32 s44, s44, exec_lo
	s_or_b32 s41, s9, s41
	s_or_b32 s40, s40, s44
.LBB13_102:                             ;   in Loop: Header=BB13_103 Depth=3
	s_or_b32 exec_lo, exec_lo, s43
	s_delay_alu instid0(SALU_CYCLE_1) | instskip(NEXT) | instid1(SALU_CYCLE_1)
	s_and_b32 s9, exec_lo, s40
	s_or_b32 s12, s9, s12
	s_and_not1_b32 s9, s29, exec_lo
	s_and_b32 s29, s41, exec_lo
	s_delay_alu instid0(SALU_CYCLE_1)
	s_or_b32 s29, s9, s29
	s_and_not1_b32 exec_lo, exec_lo, s12
	s_cbranch_execz .LBB13_110
.LBB13_103:                             ;   Parent Loop BB13_4 Depth=1
                                        ;     Parent Loop BB13_53 Depth=2
                                        ; =>    This Inner Loop Header: Depth=3
	s_wait_dscnt 0x0
	ds_load_b64 v[6:7], v101 offset:32
	s_or_b32 s41, s41, exec_lo
	s_or_b32 s40, s40, exec_lo
                                        ; implicit-def: $vgpr8
	s_wait_dscnt 0x0
	flat_load_b64 v[6:7], v[6:7] scope:SCOPE_SYS
	s_wait_loadcnt_dscnt 0x0
	ds_store_b64 v101, v[6:7] offset:48
	s_wait_xcnt 0x0
	s_and_saveexec_b32 s43, vcc_lo
	s_cbranch_execz .LBB13_102
; %bb.104:                              ;   in Loop: Header=BB13_103 Depth=3
	s_cmp_gt_i32 s42, 0x270e
	s_mov_b32 s44, -1
	s_cbranch_scc0 .LBB13_108
; %bb.105:                              ;   in Loop: Header=BB13_103 Depth=3
	s_trap 2
	ds_load_b64 v[6:7], v0
	s_mov_b32 s45, 0
	s_mov_b32 s46, 0
	s_mov_b32 s42, exec_lo
	s_wait_dscnt 0x0
	flat_load_b32 v8, v[6:7] scope:SCOPE_SYS
	s_wait_loadcnt_dscnt 0x0
	global_inv scope:SCOPE_SYS
                                        ; implicit-def: $vgpr6_vgpr7
	s_wait_xcnt 0x0
	v_cmpx_eq_u32_e32 0, v8
; %bb.106:                              ;   in Loop: Header=BB13_103 Depth=3
	ds_load_b64 v[6:7], v101 offset:48
	s_mov_b32 s46, exec_lo
; %bb.107:                              ;   in Loop: Header=BB13_103 Depth=3
	s_or_b32 exec_lo, exec_lo, s42
	s_mov_b32 s42, 0
	s_and_saveexec_b32 s47, s46
	s_cbranch_execz .LBB13_101
	s_branch .LBB13_109
.LBB13_108:                             ;   in Loop: Header=BB13_103 Depth=3
	s_add_co_i32 s42, s42, 1
	s_mov_b32 s46, -1
	s_mov_b32 s45, -1
                                        ; implicit-def: $vgpr8
	s_and_saveexec_b32 s47, s46
	s_cbranch_execz .LBB13_101
.LBB13_109:                             ;   in Loop: Header=BB13_103 Depth=3
	s_wait_dscnt 0x0
	v_add_nc_u64_e32 v[6:7], 8, v[6:7]
	s_or_b32 s45, s45, exec_lo
	s_delay_alu instid0(VALU_DEP_1)
	v_cmp_ge_u64_e64 s9, v[6:7], v[4:5]
	s_or_not1_b32 s44, s9, exec_lo
	s_branch .LBB13_101
.LBB13_110:                             ;   in Loop: Header=BB13_53 Depth=2
	s_or_b32 exec_lo, exec_lo, s12
	s_xor_b32 s9, s29, -1
	s_delay_alu instid0(SALU_CYCLE_1) | instskip(NEXT) | instid1(SALU_CYCLE_1)
	s_and_saveexec_b32 s12, s9
	s_xor_b32 s9, exec_lo, s12
	s_cbranch_execz .LBB13_112
; %bb.111:                              ;   in Loop: Header=BB13_53 Depth=2
	v_or_b32_e32 v19, 64, v19
	s_wait_loadcnt_dscnt 0x0
	ds_store_b32 v0, v8
	s_trap 2
.LBB13_112:                             ;   in Loop: Header=BB13_53 Depth=2
	s_or_b32 exec_lo, exec_lo, s9
.LBB13_113:                             ;   in Loop: Header=BB13_53 Depth=2
	s_delay_alu instid0(SALU_CYCLE_1)
	s_or_b32 exec_lo, exec_lo, s11
	ds_load_b64 v[4:5], v101 offset:24
	s_wait_dscnt 0x1
	ds_load_b32 v7, v101 offset:64
	ds_load_b32 v6, v0 offset:12
	v_and_b32_e32 v8, 7, v38
	s_wait_dscnt 0x1
	s_delay_alu instid0(VALU_DEP_1) | instskip(SKIP_2) | instid1(VALU_DEP_1)
	v_mad_nc_i64_i32 v[4:5], v8, v7, v[4:5]
	s_wait_dscnt 0x0
	v_ashrrev_i32_e32 v7, 31, v6
	v_add_nc_u64_e32 v[4:5], v[4:5], v[6:7]
	ds_store_b64 v98, v[4:5]
.LBB13_114:                             ;   in Loop: Header=BB13_53 Depth=2
	s_or_b32 exec_lo, exec_lo, s10
	s_trap 2
	ds_load_b32 v4, v0
	ds_load_b64 v[64:65], v0
	v_and_b32_e32 v5, 1, v19
	s_delay_alu instid0(VALU_DEP_1) | instskip(SKIP_3) | instid1(SALU_CYCLE_1)
	v_cmp_eq_u32_e64 s9, 1, v5
	s_wait_dscnt 0x1
	v_cmp_gt_i32_e32 vcc_lo, 0, v4
	s_and_b32 s11, vcc_lo, s9
	s_and_saveexec_b32 s10, s11
	s_cbranch_execnz .LBB13_124
; %bb.115:                              ;   in Loop: Header=BB13_53 Depth=2
	s_or_b32 exec_lo, exec_lo, s10
	s_and_saveexec_b32 s10, s6
	s_delay_alu instid0(SALU_CYCLE_1)
	s_xor_b32 s10, exec_lo, s10
	s_cbranch_execnz .LBB13_127
.LBB13_116:                             ;   in Loop: Header=BB13_53 Depth=2
	s_and_not1_saveexec_b32 s10, s10
	s_cbranch_execz .LBB13_118
.LBB13_117:                             ;   in Loop: Header=BB13_53 Depth=2
	global_wb scope:SCOPE_DEV
	s_wait_storecnt 0x0
	s_wait_loadcnt_dscnt 0x0
	global_inv scope:SCOPE_DEV
	s_barrier_signal -1
	s_barrier_wait -1
.LBB13_118:                             ;   in Loop: Header=BB13_53 Depth=2
	s_or_b32 exec_lo, exec_lo, s10
	ds_load_b32 v5, v0 offset:4
	ds_load_2addr_b64 v[0:3], v0 offset0:90 offset1:99
	s_trap 2
	s_mov_b32 s11, -1
	s_wait_dscnt 0x0
	ds_load_b32 v4, v0
	s_and_saveexec_b32 s10, s7
	s_cbranch_execz .LBB13_120
; %bb.119:                              ;   in Loop: Header=BB13_53 Depth=2
	ds_load_b32 v6, v99 offset:720
	s_wait_dscnt 0x0
	v_and_b32_e32 v6, 15, v6
	s_delay_alu instid0(VALU_DEP_1)
	v_cmp_eq_u32_e32 vcc_lo, 0, v6
	s_or_not1_b32 s11, vcc_lo, exec_lo
.LBB13_120:                             ;   in Loop: Header=BB13_53 Depth=2
	s_or_b32 exec_lo, exec_lo, s10
	v_cmp_gt_i32_e64 s10, 0, v5
	v_cmp_eq_u64_e32 vcc_lo, v[0:1], v[2:3]
	s_mov_b32 s12, exec_lo
	v_cndmask_b32_e64 v5, 2, 1, s10
	v_cndmask_b32_e64 v51, v98, v97, s10
	s_delay_alu instid0(VALU_DEP_2) | instskip(NEXT) | instid1(VALU_DEP_1)
	v_subrev_co_ci_u32_e64 v102, null, 0, v5, vcc_lo
	v_cmpx_lt_i32_e64 v87, v102
	s_cbranch_execz .LBB13_122
; %bb.121:                              ;   in Loop: Header=BB13_53 Depth=2
	s_delay_alu instid0(VALU_DEP_3) | instskip(SKIP_3) | instid1(VALU_DEP_1)
	v_lshl_add_u32 v2, v87, 3, v51
	ds_load_b32 v2, v2
	s_wait_dscnt 0x0
	v_and_b32_e32 v2, 15, v2
	v_cmp_eq_u32_e32 vcc_lo, 0, v2
	s_and_b32 s29, s11, vcc_lo
	s_and_not1_b32 s11, s11, exec_lo
	s_and_b32 s29, s29, exec_lo
	s_delay_alu instid0(SALU_CYCLE_1)
	s_or_b32 s11, s11, s29
.LBB13_122:                             ;   in Loop: Header=BB13_53 Depth=2
	s_or_b32 exec_lo, exec_lo, s12
	s_xor_b32 s11, s11, -1
	v_mov_b32_e32 v6, 0
	v_cndmask_b32_e64 v2, 0, 1, s11
	s_wait_dscnt 0x0
	v_cmp_eq_u32_e64 s11, 0, v4
	s_delay_alu instid0(VALU_DEP_2) | instskip(NEXT) | instid1(VALU_DEP_2)
	v_cmp_ne_u32_e32 vcc_lo, 0, v2
	v_cndmask_b32_e64 v103, 0, v50, s11
	s_mov_b32 s11, -1
	s_cbranch_vccz .LBB13_137
; %bb.123:                              ;   in Loop: Header=BB13_53 Depth=2
	v_dual_mov_b32 v7, v85 :: v_dual_mov_b32 v2, v86
	s_and_saveexec_b32 s12, s11
	s_cbranch_execnz .LBB13_177
	s_branch .LBB13_189
.LBB13_124:                             ;   in Loop: Header=BB13_53 Depth=2
	ds_load_b64 v[6:7], v0 offset:40
	v_mov_b32_e32 v51, v18
	s_mov_b32 s11, exec_lo
	s_wait_dscnt 0x0
	s_delay_alu instid0(VALU_DEP_1)
	v_add_nc_u64_e32 v[4:5], v[6:7], v[50:51]
	v_add_nc_u64_e32 v[0:1], v[0:1], v[6:7]
	ds_store_b64 v0, v[0:1] offset:720
	v_cmpx_lt_u64_e64 v[64:65], v[4:5]
	s_cbranch_execz .LBB13_126
; %bb.125:                              ;   in Loop: Header=BB13_53 Depth=2
	ds_load_b64 v[0:1], v0 offset:48
	v_mov_b64_e32 v[64:65], v[4:5]
	s_wait_dscnt 0x0
	v_add_nc_u64_e32 v[0:1], v[2:3], v[0:1]
.LBB13_126:                             ;   in Loop: Header=BB13_53 Depth=2
	s_or_b32 exec_lo, exec_lo, s11
	ds_store_b64 v97, v[0:1]
	s_or_b32 exec_lo, exec_lo, s10
	s_and_saveexec_b32 s10, s6
	s_delay_alu instid0(SALU_CYCLE_1)
	s_xor_b32 s10, exec_lo, s10
	s_cbranch_execz .LBB13_116
.LBB13_127:                             ;   in Loop: Header=BB13_53 Depth=2
	s_and_saveexec_b32 s11, s24
	s_cbranch_execz .LBB13_167
; %bb.128:                              ;   in Loop: Header=BB13_53 Depth=2
	s_mov_b32 s29, exec_lo
	s_mov_b32 s12, exec_lo
	v_mbcnt_lo_u32_b32 v0, s29, 0
	global_wb scope:SCOPE_DEV
	s_wait_storecnt 0x0
	s_wait_loadcnt_dscnt 0x0
	global_inv scope:SCOPE_DEV
	v_cmpx_eq_u32_e32 0, v0
	s_cbranch_execz .LBB13_130
; %bb.129:                              ;   in Loop: Header=BB13_53 Depth=2
	s_bcnt1_i32_b32 s29, s29
	s_delay_alu instid0(SALU_CYCLE_1)
	v_dual_mov_b32 v1, v18 :: v_dual_mov_b32 v0, s29
	s_wait_loadcnt 0x0
	ds_add_u64 v0, v[0:1]
	s_trap 2
.LBB13_130:                             ;   in Loop: Header=BB13_53 Depth=2
	s_or_b32 exec_lo, exec_lo, s12
	s_trap 2
	ds_load_b64 v[0:1], v0
	s_wait_dscnt 0x0
	v_add_nc_u64_e32 v[32:33], 4, v[32:33]
	s_mov_b32 s12, exec_lo
	s_delay_alu instid0(VALU_DEP_1)
	v_cmpx_lt_u64_e64 v[0:1], v[32:33]
	s_cbranch_execz .LBB13_166
; %bb.131:                              ;   in Loop: Header=BB13_53 Depth=2
	s_mov_b32 s29, 0
	s_mov_b32 s42, 0
                                        ; implicit-def: $sgpr40
                                        ; implicit-def: $sgpr41
	s_branch .LBB13_133
.LBB13_132:                             ;   in Loop: Header=BB13_133 Depth=3
	s_or_b32 exec_lo, exec_lo, s44
	s_delay_alu instid0(SALU_CYCLE_1) | instskip(NEXT) | instid1(SALU_CYCLE_1)
	s_and_b32 s43, exec_lo, s45
	s_or_b32 s29, s43, s29
	s_and_not1_b32 s40, s40, exec_lo
	s_and_b32 s43, s41, exec_lo
	s_delay_alu instid0(SALU_CYCLE_1)
	s_or_b32 s40, s40, s43
	s_and_not1_b32 exec_lo, exec_lo, s29
	s_cbranch_execz .LBB13_164
.LBB13_133:                             ;   Parent Loop BB13_4 Depth=1
                                        ;     Parent Loop BB13_53 Depth=2
                                        ; =>    This Inner Loop Header: Depth=3
	s_add_co_i32 s42, s42, 1
	s_delay_alu instid0(SALU_CYCLE_1) | instskip(SKIP_1) | instid1(SALU_CYCLE_1)
	s_cmp_lg_u32 s42, 0x2710
	s_cselect_b32 s43, -1, 0
	s_and_b32 vcc_lo, exec_lo, s43
	s_cbranch_vccz .LBB13_135
; %bb.134:                              ;   in Loop: Header=BB13_133 Depth=3
	s_mov_b32 s45, -1
	s_or_b32 s41, s41, exec_lo
	s_and_saveexec_b32 s44, s43
	s_cbranch_execz .LBB13_132
	s_branch .LBB13_136
.LBB13_135:                             ;   in Loop: Header=BB13_133 Depth=3
	s_trap 2
	ds_load_b64 v[0:1], v0
	s_and_not1_b32 s43, s43, exec_lo
	s_mov_b32 s42, 0
	s_wait_loadcnt_dscnt 0x0
	flat_load_b32 v0, v[0:1] scope:SCOPE_SYS
	s_wait_loadcnt_dscnt 0x0
	global_inv scope:SCOPE_SYS
	v_cmp_eq_u32_e32 vcc_lo, 0, v0
	s_and_b32 s44, vcc_lo, exec_lo
	s_delay_alu instid0(SALU_CYCLE_1)
	s_or_b32 s43, s43, s44
	s_mov_b32 s45, -1
	s_or_b32 s41, s41, exec_lo
	s_and_saveexec_b32 s44, s43
	s_cbranch_execz .LBB13_132
.LBB13_136:                             ;   in Loop: Header=BB13_133 Depth=3
	s_sleep 1
	s_trap 2
	ds_load_b64 v[0:1], v0
	s_wait_dscnt 0x0
	s_and_not1_b32 s41, s41, exec_lo
	v_cmp_ge_u64_e32 vcc_lo, v[0:1], v[32:33]
	s_or_not1_b32 s45, vcc_lo, exec_lo
	s_branch .LBB13_132
.LBB13_137:                             ;   in Loop: Header=BB13_53 Depth=2
	s_delay_alu instid0(VALU_DEP_1) | instskip(SKIP_1) | instid1(VALU_DEP_1)
	v_lshrrev_b32_e32 v2, 11, v103
	s_mov_b32 s12, exec_lo
	v_sub_nc_u32_e32 v112, v2, v86
	s_delay_alu instid0(VALU_DEP_1)
	v_cmpx_lt_i32_e32 0, v112
	s_cbranch_execz .LBB13_143
; %bb.138:                              ;   in Loop: Header=BB13_53 Depth=2
	ds_load_b64 v[66:67], v51
	v_mov_b64_e32 v[68:69], v[48:49]
	s_mov_b32 s29, 0
	v_cmp_lt_u32_e32 vcc_lo, 1, v102
	s_branch .LBB13_140
.LBB13_139:                             ;   in Loop: Header=BB13_140 Depth=3
	s_wait_xcnt 0x0
	s_or_b32 exec_lo, exec_lo, s11
	v_sub_nc_u32_e32 v112, v112, v28
	v_add_nc_u64_e32 v[68:69], v[68:69], v[34:35]
	s_delay_alu instid0(VALU_DEP_2) | instskip(SKIP_1) | instid1(SALU_CYCLE_1)
	v_cmp_gt_i32_e64 s11, 1, v112
	s_or_b32 s29, s11, s29
	s_and_not1_b32 exec_lo, exec_lo, s29
	s_cbranch_execz .LBB13_142
.LBB13_140:                             ;   Parent Loop BB13_4 Depth=1
                                        ;     Parent Loop BB13_53 Depth=2
                                        ; =>    This Inner Loop Header: Depth=3
	s_delay_alu instid0(VALU_DEP_2)
	v_add_nc_u64_e32 v[2:3], v[0:1], v[68:69]
	s_wait_dscnt 0x0
	v_add_nc_u64_e32 v[114:115], v[66:67], v[68:69]
	s_clause 0x3
	global_load_b128 v[14:17], v[2:3], off offset:-1536 th:TH_LOAD_NT
	global_load_b128 v[10:13], v[2:3], off offset:-1024 th:TH_LOAD_NT
	;; [unrolled: 1-line block ×3, first 2 shown]
	global_load_b128 v[2:5], v[2:3], off th:TH_LOAD_NT
	s_wait_loadcnt 0x3
	global_store_b128 v[114:115], v[14:17], off offset:-1536 th:TH_STORE_NT
	s_wait_loadcnt 0x2
	global_store_b128 v[114:115], v[10:13], off offset:-1024 th:TH_STORE_NT
	;; [unrolled: 2-line block ×3, first 2 shown]
	s_wait_loadcnt 0x0
	global_store_b128 v[114:115], v[2:5], off th:TH_STORE_NT
	s_wait_xcnt 0x0
	s_and_saveexec_b32 s11, vcc_lo
	s_cbranch_execz .LBB13_139
; %bb.141:                              ;   in Loop: Header=BB13_140 Depth=3
	ds_load_b64 v[114:115], v51 offset:8
	s_wait_dscnt 0x0
	v_add_nc_u64_e32 v[114:115], v[68:69], v[114:115]
	s_clause 0x3
	global_store_b128 v[114:115], v[14:17], off offset:-1536 th:TH_STORE_NT
	global_store_b128 v[114:115], v[10:13], off offset:-1024 th:TH_STORE_NT
	;; [unrolled: 1-line block ×3, first 2 shown]
	global_store_b128 v[114:115], v[2:5], off th:TH_STORE_NT
	s_branch .LBB13_139
.LBB13_142:                             ;   in Loop: Header=BB13_53 Depth=2
	s_or_b32 exec_lo, exec_lo, s29
.LBB13_143:                             ;   in Loop: Header=BB13_53 Depth=2
	s_delay_alu instid0(SALU_CYCLE_1) | instskip(SKIP_4) | instid1(VALU_DEP_2)
	s_or_b32 exec_lo, exec_lo, s12
	v_and_b32_e32 v4, 0x7ff, v103
	v_mov_b32_e32 v6, 0
	s_mov_b32 s11, 0
	s_mov_b32 s29, exec_lo
                                        ; implicit-def: $vgpr3
                                        ; implicit-def: $vgpr7
                                        ; implicit-def: $vgpr2
	v_cmpx_ne_u32_e32 0, v4
	s_cbranch_execz .LBB13_176
; %bb.144:                              ;   in Loop: Header=BB13_53 Depth=2
	v_lshlrev_b32_e32 v2, 5, v112
	v_and_b32_e32 v12, 0x1ff, v103
	s_mov_b32 s40, exec_lo
	s_delay_alu instid0(VALU_DEP_2) | instskip(NEXT) | instid1(VALU_DEP_2)
	v_sub_nc_u32_e32 v2, v87, v2
	v_cmp_lt_u32_e32 vcc_lo, 15, v12
	s_delay_alu instid0(VALU_DEP_2) | instskip(NEXT) | instid1(VALU_DEP_1)
	v_ashrrev_i32_e32 v3, 31, v2
	v_lshrrev_b32_e32 v3, 27, v3
	s_delay_alu instid0(VALU_DEP_1) | instskip(NEXT) | instid1(VALU_DEP_1)
	v_add_nc_u32_e32 v3, v2, v3
	v_and_b32_e32 v5, 0xffffffe0, v3
	s_delay_alu instid0(VALU_DEP_1) | instskip(NEXT) | instid1(VALU_DEP_1)
	v_dual_ashrrev_i32 v3, 5, v3 :: v_dual_sub_nc_u32 v10, v2, v5
	v_lshlrev_b32_e32 v2, 4, v10
	s_delay_alu instid0(VALU_DEP_1) | instskip(NEXT) | instid1(VALU_DEP_1)
	v_lshl_add_u32 v2, v3, 9, v2
	v_dual_lshrrev_b32 v5, 9, v4 :: v_dual_sub_nc_u32 v13, v4, v2
	s_delay_alu instid0(VALU_DEP_1) | instskip(NEXT) | instid1(VALU_DEP_1)
	v_add_co_ci_u32_e64 v5, null, 0, v5, vcc_lo
	v_sub_nc_u32_e32 v11, v5, v3
	s_delay_alu instid0(VALU_DEP_3)
	v_cmpx_lt_i32_e32 15, v13
	s_cbranch_execz .LBB13_173
; %bb.145:                              ;   in Loop: Header=BB13_53 Depth=2
	ds_load_b64 v[6:7], v51
	v_and_b32_e32 v3, 0x7ffff800, v103
	v_cmp_lt_u32_e64 s11, 1, v102
	s_mov_b32 s41, 0
	v_add_nc_u32_e32 v8, v2, v3
	s_delay_alu instid0(VALU_DEP_1)
	v_ashrrev_i32_e32 v9, 31, v8
	s_branch .LBB13_147
.LBB13_146:                             ;   in Loop: Header=BB13_147 Depth=3
	s_wait_xcnt 0x0
	s_or_b32 exec_lo, exec_lo, s12
	v_sub_nc_u32_e32 v13, v13, v36
	v_add_nc_u64_e32 v[8:9], v[8:9], v[36:37]
	v_sub_nc_u32_e32 v11, v11, v28
	s_delay_alu instid0(VALU_DEP_3) | instskip(SKIP_1) | instid1(SALU_CYCLE_1)
	v_cmp_gt_i32_e64 s12, 16, v13
	s_or_b32 s41, s12, s41
	s_and_not1_b32 exec_lo, exec_lo, s41
	s_cbranch_execz .LBB13_172
.LBB13_147:                             ;   Parent Loop BB13_4 Depth=1
                                        ;     Parent Loop BB13_53 Depth=2
                                        ; =>    This Inner Loop Header: Depth=3
	s_delay_alu instid0(VALU_DEP_1)
	v_add_nc_u64_e32 v[2:3], v[0:1], v[8:9]
	s_wait_dscnt 0x0
	v_add_nc_u64_e32 v[14:15], v[6:7], v[8:9]
	global_load_b128 v[2:5], v[2:3], off th:TH_LOAD_NT
	s_wait_loadcnt 0x0
	global_store_b128 v[14:15], v[2:5], off th:TH_STORE_NT
	s_wait_xcnt 0x0
	s_and_saveexec_b32 s12, s11
	s_cbranch_execz .LBB13_146
; %bb.148:                              ;   in Loop: Header=BB13_147 Depth=3
	ds_load_b64 v[14:15], v51 offset:8
	s_wait_dscnt 0x0
	v_add_nc_u64_e32 v[14:15], v[8:9], v[14:15]
	global_store_b128 v[14:15], v[2:5], off th:TH_STORE_NT
	s_branch .LBB13_146
.LBB13_149:                             ;   in Loop: Header=BB13_53 Depth=2
	s_or_b32 exec_lo, exec_lo, s26
	s_and_saveexec_b32 s26, s27
	s_delay_alu instid0(SALU_CYCLE_1)
	s_xor_b32 s26, exec_lo, s26
	s_cbranch_execz .LBB13_151
; %bb.150:                              ;   in Loop: Header=BB13_53 Depth=2
	ds_store_b32 v0, v80
	s_trap 2
.LBB13_151:                             ;   in Loop: Header=BB13_53 Depth=2
	s_or_b32 exec_lo, exec_lo, s12
	;;#ASMSTART
	s_wakeup
	;;#ASMEND
.LBB13_152:                             ;   in Loop: Header=BB13_53 Depth=2
	s_or_b32 exec_lo, exec_lo, s11
	s_and_not1_saveexec_b32 s10, s10
	s_cbranch_execz .LBB13_60
.LBB13_153:                             ;   in Loop: Header=BB13_53 Depth=2
	global_wb scope:SCOPE_DEV
	s_wait_storecnt 0x0
	s_wait_loadcnt_dscnt 0x0
	global_inv scope:SCOPE_DEV
	s_barrier_signal -1
	s_barrier_wait -1
	s_or_b32 exec_lo, exec_lo, s10
	s_and_saveexec_b32 s10, s6
	s_delay_alu instid0(SALU_CYCLE_1)
	s_xor_b32 s10, exec_lo, s10
	s_cbranch_execz .LBB13_61
.LBB13_154:                             ;   in Loop: Header=BB13_53 Depth=2
	s_and_saveexec_b32 s11, s24
	s_cbranch_execz .LBB13_171
; %bb.155:                              ;   in Loop: Header=BB13_53 Depth=2
	s_mov_b32 s26, exec_lo
	s_mov_b32 s12, exec_lo
	v_mbcnt_lo_u32_b32 v0, s26, 0
	global_wb scope:SCOPE_DEV
	s_wait_storecnt 0x0
	s_wait_loadcnt_dscnt 0x0
	global_inv scope:SCOPE_DEV
	v_cmpx_eq_u32_e32 0, v0
	s_cbranch_execz .LBB13_157
; %bb.156:                              ;   in Loop: Header=BB13_53 Depth=2
	s_bcnt1_i32_b32 s26, s26
	s_delay_alu instid0(SALU_CYCLE_1)
	v_dual_mov_b32 v1, v18 :: v_dual_mov_b32 v0, s26
	s_wait_loadcnt 0x0
	ds_add_u64 v0, v[0:1]
	s_trap 2
.LBB13_157:                             ;   in Loop: Header=BB13_53 Depth=2
	s_or_b32 exec_lo, exec_lo, s12
	s_trap 2
	ds_load_b64 v[0:1], v0
	s_wait_dscnt 0x0
	v_add_nc_u64_e32 v[32:33], 4, v[32:33]
	s_mov_b32 s12, exec_lo
	s_delay_alu instid0(VALU_DEP_1)
	v_cmpx_lt_u64_e64 v[0:1], v[32:33]
	s_cbranch_execz .LBB13_170
; %bb.158:                              ;   in Loop: Header=BB13_53 Depth=2
	s_mov_b32 s26, 0
	s_mov_b32 s29, 0
                                        ; implicit-def: $sgpr27
                                        ; implicit-def: $sgpr28
	s_branch .LBB13_160
.LBB13_159:                             ;   in Loop: Header=BB13_160 Depth=3
	s_or_b32 exec_lo, exec_lo, s41
	s_delay_alu instid0(SALU_CYCLE_1) | instskip(NEXT) | instid1(SALU_CYCLE_1)
	s_and_b32 s40, exec_lo, s42
	s_or_b32 s26, s40, s26
	s_and_not1_b32 s27, s27, exec_lo
	s_and_b32 s40, s28, exec_lo
	s_delay_alu instid0(SALU_CYCLE_1)
	s_or_b32 s27, s27, s40
	s_and_not1_b32 exec_lo, exec_lo, s26
	s_cbranch_execz .LBB13_168
.LBB13_160:                             ;   Parent Loop BB13_4 Depth=1
                                        ;     Parent Loop BB13_53 Depth=2
                                        ; =>    This Inner Loop Header: Depth=3
	s_add_co_i32 s29, s29, 1
	s_delay_alu instid0(SALU_CYCLE_1) | instskip(SKIP_1) | instid1(SALU_CYCLE_1)
	s_cmp_lg_u32 s29, 0x2710
	s_cselect_b32 s40, -1, 0
	s_and_b32 vcc_lo, exec_lo, s40
	s_cbranch_vccz .LBB13_162
; %bb.161:                              ;   in Loop: Header=BB13_160 Depth=3
	s_mov_b32 s42, -1
	s_or_b32 s28, s28, exec_lo
	s_and_saveexec_b32 s41, s40
	s_cbranch_execz .LBB13_159
	s_branch .LBB13_163
.LBB13_162:                             ;   in Loop: Header=BB13_160 Depth=3
	s_trap 2
	ds_load_b64 v[0:1], v0
	s_and_not1_b32 s40, s40, exec_lo
	s_mov_b32 s29, 0
	s_wait_loadcnt_dscnt 0x0
	flat_load_b32 v0, v[0:1] scope:SCOPE_SYS
	s_wait_loadcnt_dscnt 0x0
	global_inv scope:SCOPE_SYS
	v_cmp_eq_u32_e32 vcc_lo, 0, v0
	s_and_b32 s41, vcc_lo, exec_lo
	s_delay_alu instid0(SALU_CYCLE_1)
	s_or_b32 s40, s40, s41
	s_mov_b32 s42, -1
	s_or_b32 s28, s28, exec_lo
	s_and_saveexec_b32 s41, s40
	s_cbranch_execz .LBB13_159
.LBB13_163:                             ;   in Loop: Header=BB13_160 Depth=3
	s_sleep 1
	s_trap 2
	ds_load_b64 v[0:1], v0
	s_wait_dscnt 0x0
	s_and_not1_b32 s28, s28, exec_lo
	v_cmp_ge_u64_e32 vcc_lo, v[0:1], v[32:33]
	s_or_not1_b32 s42, vcc_lo, exec_lo
	s_branch .LBB13_159
.LBB13_164:                             ;   in Loop: Header=BB13_53 Depth=2
	s_or_b32 exec_lo, exec_lo, s29
	s_and_saveexec_b32 s29, s40
	s_delay_alu instid0(SALU_CYCLE_1)
	s_xor_b32 s29, exec_lo, s29
	s_cbranch_execz .LBB13_166
; %bb.165:                              ;   in Loop: Header=BB13_53 Depth=2
	ds_store_b32 v0, v80
	s_trap 2
.LBB13_166:                             ;   in Loop: Header=BB13_53 Depth=2
	s_or_b32 exec_lo, exec_lo, s12
	;;#ASMSTART
	s_wakeup
	;;#ASMEND
.LBB13_167:                             ;   in Loop: Header=BB13_53 Depth=2
	s_or_b32 exec_lo, exec_lo, s11
	s_and_not1_saveexec_b32 s10, s10
	s_cbranch_execnz .LBB13_117
	s_branch .LBB13_118
.LBB13_168:                             ;   in Loop: Header=BB13_53 Depth=2
	s_or_b32 exec_lo, exec_lo, s26
	s_and_saveexec_b32 s26, s27
	s_delay_alu instid0(SALU_CYCLE_1)
	s_xor_b32 s26, exec_lo, s26
	s_cbranch_execz .LBB13_170
; %bb.169:                              ;   in Loop: Header=BB13_53 Depth=2
	ds_store_b32 v0, v80
	s_trap 2
.LBB13_170:                             ;   in Loop: Header=BB13_53 Depth=2
	s_or_b32 exec_lo, exec_lo, s12
	;;#ASMSTART
	s_wakeup
	;;#ASMEND
.LBB13_171:                             ;   in Loop: Header=BB13_53 Depth=2
	s_or_b32 exec_lo, exec_lo, s11
	s_and_not1_saveexec_b32 s10, s10
	s_cbranch_execnz .LBB13_62
	s_branch .LBB13_63
.LBB13_172:                             ;   in Loop: Header=BB13_53 Depth=2
	s_or_b32 exec_lo, exec_lo, s41
.LBB13_173:                             ;   in Loop: Header=BB13_53 Depth=2
	s_delay_alu instid0(SALU_CYCLE_1) | instskip(SKIP_3) | instid1(VALU_DEP_1)
	s_or_b32 exec_lo, exec_lo, s40
	v_dual_mov_b32 v6, 0 :: v_dual_bitop2_b32 v2, 15, v103 bitop3:0x40
	s_mov_b32 s12, 0
	s_mov_b32 s40, exec_lo
                                        ; implicit-def: $vgpr7
	v_cndmask_b32_e32 v3, v12, v2, vcc_lo
                                        ; implicit-def: $vgpr2
	s_delay_alu instid0(VALU_DEP_1)
	v_cmpx_ne_u32_e32 0, v3
	s_cbranch_execz .LBB13_175
; %bb.174:                              ;   in Loop: Header=BB13_53 Depth=2
	v_cmp_lt_i32_e64 s11, 0, v11
	v_cndmask_b32_e32 v4, 0x7ffffe00, v83, vcc_lo
	s_mov_b32 s12, exec_lo
	s_delay_alu instid0(VALU_DEP_1) | instskip(NEXT) | instid1(VALU_DEP_1)
	v_dual_cndmask_b32 v2, 0, v28, s11 :: v_dual_bitop2_b32 v6, v4, v103 bitop3:0x40
	v_sub_nc_u32_e32 v2, v2, v11
	s_delay_alu instid0(VALU_DEP_1) | instskip(NEXT) | instid1(VALU_DEP_1)
	v_lshl_add_u32 v7, v2, 5, v10
	v_ashrrev_i32_e32 v2, 31, v7
	s_delay_alu instid0(VALU_DEP_1) | instskip(NEXT) | instid1(VALU_DEP_1)
	v_lshrrev_b32_e32 v2, 27, v2
	v_add_nc_u32_e32 v2, v7, v2
	s_delay_alu instid0(VALU_DEP_1)
	v_ashrrev_i32_e32 v2, 5, v2
.LBB13_175:                             ;   in Loop: Header=BB13_53 Depth=2
	s_or_b32 exec_lo, exec_lo, s40
	s_delay_alu instid0(SALU_CYCLE_1)
	s_and_b32 s11, s12, exec_lo
.LBB13_176:                             ;   in Loop: Header=BB13_53 Depth=2
	s_or_b32 exec_lo, exec_lo, s29
	v_mov_b32_e32 v103, v3
	s_and_saveexec_b32 s12, s11
	s_cbranch_execz .LBB13_189
.LBB13_177:                             ;   in Loop: Header=BB13_53 Depth=2
	s_delay_alu instid0(VALU_DEP_1) | instskip(SKIP_1) | instid1(VALU_DEP_1)
	v_lshrrev_b32_e32 v3, 9, v103
	s_mov_b32 s29, exec_lo
	v_dual_sub_nc_u32 v8, v3, v2 :: v_dual_ashrrev_i32 v3, 31, v7
	s_delay_alu instid0(VALU_DEP_1) | instskip(NEXT) | instid1(VALU_DEP_2)
	v_lshrrev_b32_e32 v9, 27, v3
	v_cmpx_lt_i32_e32 0, v8
	s_cbranch_execz .LBB13_183
; %bb.178:                              ;   in Loop: Header=BB13_53 Depth=2
	s_delay_alu instid0(VALU_DEP_2) | instskip(SKIP_2) | instid1(VALU_DEP_2)
	v_dual_add_nc_u32 v3, v7, v9 :: v_dual_lshlrev_b32 v5, 9, v2
	s_mov_b32 s40, 0
	v_cmp_lt_u32_e32 vcc_lo, 1, v102
	v_and_b32_e32 v3, 0xffffffe0, v3
	s_delay_alu instid0(VALU_DEP_1) | instskip(SKIP_2) | instid1(VALU_DEP_1)
	v_sub_nc_u32_e32 v4, v7, v3
	ds_load_b64 v[2:3], v51
	v_add3_u32 v4, v4, v5, v6
	v_ashrrev_i32_e32 v5, 31, v4
	s_delay_alu instid0(VALU_DEP_1)
	v_add_nc_u64_e32 v[4:5], 0x1e0, v[4:5]
	s_branch .LBB13_180
.LBB13_179:                             ;   in Loop: Header=BB13_180 Depth=3
	s_wait_xcnt 0x0
	s_or_b32 exec_lo, exec_lo, s11
	v_sub_nc_u32_e32 v8, v8, v28
	v_add_nc_u64_e32 v[4:5], v[4:5], v[36:37]
	s_delay_alu instid0(VALU_DEP_2) | instskip(SKIP_1) | instid1(SALU_CYCLE_1)
	v_cmp_gt_i32_e64 s11, 1, v8
	s_or_b32 s40, s11, s40
	s_and_not1_b32 exec_lo, exec_lo, s40
	s_cbranch_execz .LBB13_182
.LBB13_180:                             ;   Parent Loop BB13_4 Depth=1
                                        ;     Parent Loop BB13_53 Depth=2
                                        ; =>    This Inner Loop Header: Depth=3
	s_delay_alu instid0(VALU_DEP_1)
	v_add_nc_u64_e32 v[116:117], v[0:1], v[4:5]
	s_clause 0xf
	flat_load_u8 v10, v[116:117] offset:-480 th:TH_LOAD_NT
	flat_load_u8 v11, v[116:117] offset:-448 th:TH_LOAD_NT
	;; [unrolled: 1-line block ×15, first 2 shown]
	flat_load_u8 v115, v[116:117] th:TH_LOAD_NT
	s_wait_dscnt 0x10
	s_wait_xcnt 0x0
	v_add_nc_u64_e32 v[116:117], v[2:3], v[4:5]
	s_wait_loadcnt_dscnt 0xf0f
	flat_store_b8 v[116:117], v10 offset:-480 th:TH_STORE_NT
	s_wait_loadcnt_dscnt 0xe0f
	flat_store_b8 v[116:117], v11 offset:-448 th:TH_STORE_NT
	;; [unrolled: 2-line block ×15, first 2 shown]
	s_wait_loadcnt_dscnt 0xf
	flat_store_b8 v[116:117], v115 th:TH_STORE_NT
	s_wait_xcnt 0x0
	s_and_saveexec_b32 s11, vcc_lo
	s_cbranch_execz .LBB13_179
; %bb.181:                              ;   in Loop: Header=BB13_180 Depth=3
	ds_load_b64 v[116:117], v51 offset:8
	s_wait_dscnt 0x0
	v_add_nc_u64_e32 v[116:117], v[4:5], v[116:117]
	s_clause 0xf
	flat_store_b8 v[116:117], v10 offset:-480 th:TH_STORE_NT
	flat_store_b8 v[116:117], v11 offset:-448 th:TH_STORE_NT
	;; [unrolled: 1-line block ×15, first 2 shown]
	flat_store_b8 v[116:117], v115 th:TH_STORE_NT
	s_branch .LBB13_179
.LBB13_182:                             ;   in Loop: Header=BB13_53 Depth=2
	s_or_b32 exec_lo, exec_lo, s40
.LBB13_183:                             ;   in Loop: Header=BB13_53 Depth=2
	s_delay_alu instid0(SALU_CYCLE_1) | instskip(SKIP_1) | instid1(VALU_DEP_1)
	s_or_b32 exec_lo, exec_lo, s29
	v_and_b32_e32 v4, 0xfffffe00, v103
	v_cmp_ne_u32_e32 vcc_lo, v103, v4
	s_and_b32 exec_lo, exec_lo, vcc_lo
	s_cbranch_execz .LBB13_189
; %bb.184:                              ;   in Loop: Header=BB13_53 Depth=2
	v_dual_add_nc_u32 v0, v7, v9 :: v_dual_lshlrev_b32 v1, 5, v8
	s_delay_alu instid0(VALU_DEP_1) | instskip(NEXT) | instid1(VALU_DEP_1)
	v_and_b32_e32 v0, 0xffffffe0, v0
	v_sub_nc_u32_e32 v0, v7, v0
	s_delay_alu instid0(VALU_DEP_1) | instskip(SKIP_1) | instid1(VALU_DEP_1)
	v_sub_nc_u32_e32 v5, v0, v1
	v_and_b32_e32 v0, 0x1ff, v103
	v_sub_nc_u32_e32 v7, v0, v5
	s_delay_alu instid0(VALU_DEP_1)
	v_cmp_lt_i32_e32 vcc_lo, 0, v7
	s_and_b32 exec_lo, exec_lo, vcc_lo
	s_cbranch_execz .LBB13_189
; %bb.185:                              ;   in Loop: Header=BB13_53 Depth=2
	v_cndmask_b32_e64 v0, 0x310, v84, s10
	v_add3_u32 v4, v4, v6, v5
	s_mov_b32 s11, 0
	v_cmp_lt_u32_e32 vcc_lo, 1, v102
	s_delay_alu instid0(VALU_DEP_3) | instskip(NEXT) | instid1(VALU_DEP_3)
	v_add_nc_u32_e32 v0, v0, v0
	v_ashrrev_i32_e32 v5, 31, v4
	ds_load_b64 v[0:1], v0
	s_wait_dscnt 0x0
	ds_load_b64 v[2:3], v0 offset:720
	s_branch .LBB13_187
.LBB13_186:                             ;   in Loop: Header=BB13_187 Depth=3
	s_wait_xcnt 0x0
	s_or_b32 exec_lo, exec_lo, s10
	v_sub_nc_u32_e32 v7, v7, v30
	v_add_nc_u64_e32 v[4:5], v[4:5], v[30:31]
	s_delay_alu instid0(VALU_DEP_2) | instskip(SKIP_1) | instid1(SALU_CYCLE_1)
	v_cmp_gt_i32_e64 s10, 1, v7
	s_or_b32 s11, s10, s11
	s_and_not1_b32 exec_lo, exec_lo, s11
	s_cbranch_execz .LBB13_189
.LBB13_187:                             ;   Parent Loop BB13_4 Depth=1
                                        ;     Parent Loop BB13_53 Depth=2
                                        ; =>    This Inner Loop Header: Depth=3
	s_wait_dscnt 0x0
	v_add_nc_u64_e32 v[8:9], v[2:3], v[4:5]
	flat_load_u8 v6, v[8:9] th:TH_LOAD_NT
	s_wait_xcnt 0x0
	v_add_nc_u64_e32 v[8:9], v[0:1], v[4:5]
	s_wait_loadcnt_dscnt 0x0
	flat_store_b8 v[8:9], v6 th:TH_STORE_NT
	s_wait_xcnt 0x0
	s_and_saveexec_b32 s10, vcc_lo
	s_cbranch_execz .LBB13_186
; %bb.188:                              ;   in Loop: Header=BB13_187 Depth=3
	ds_load_b64 v[8:9], v51 offset:8
	s_wait_dscnt 0x0
	v_add_nc_u64_e32 v[8:9], v[4:5], v[8:9]
	flat_store_b8 v[8:9], v6 th:TH_STORE_NT
	s_branch .LBB13_186
.LBB13_189:                             ;   in Loop: Header=BB13_53 Depth=2
	s_or_b32 exec_lo, exec_lo, s12
	v_and_b32_e32 v0, 16, v19
	v_cmp_ne_u32_e32 vcc_lo, 0, v53
	s_delay_alu instid0(VALU_DEP_2) | instskip(SKIP_1) | instid1(SALU_CYCLE_1)
	v_cmp_ne_u32_e64 s10, 0, v0
	s_and_b32 s11, vcc_lo, s28
	s_and_b32 s11, s11, s10
	s_delay_alu instid0(SALU_CYCLE_1)
	s_and_saveexec_b32 s10, s11
	s_cbranch_execz .LBB13_193
; %bb.190:                              ;   in Loop: Header=BB13_53 Depth=2
	ds_load_b64 v[0:1], v101 offset:16
	s_mov_b32 s12, exec_lo
	s_wait_dscnt 0x0
	v_cmpx_ne_u64_e32 0, v[0:1]
	s_cbranch_execz .LBB13_192
; %bb.191:                              ;   in Loop: Header=BB13_53 Depth=2
	ds_load_b32 v2, v0 offset:12
	v_and_b32_e32 v3, 7, v38
	s_delay_alu instid0(VALU_DEP_1) | instskip(SKIP_2) | instid1(VALU_DEP_1)
	v_mad_nc_u64_u32 v[0:1], v3, 24, v[0:1]
	s_wait_dscnt 0x0
	v_add_nc_u32_e32 v2, v2, v50
	v_ashrrev_i32_e32 v3, 31, v2
	flat_store_b64 v[0:1], v[2:3] offset:8
.LBB13_192:                             ;   in Loop: Header=BB13_53 Depth=2
	s_wait_xcnt 0x0
	s_or_b32 exec_lo, exec_lo, s12
	ds_load_b64 v[0:1], v101 offset:8
	v_mov_b64_e32 v[38:39], v[54:55]
	ds_store_b64 v101, v[54:55]
	s_wait_dscnt 0x1
	flat_store_b64 v[0:1], v[54:55] offset:104 th:TH_STORE_NT
.LBB13_193:                             ;   in Loop: Header=BB13_53 Depth=2
	s_wait_xcnt 0x0
	s_or_b32 exec_lo, exec_lo, s10
	v_and_b32_e32 v0, 32, v19
	v_cmp_ne_u32_e32 vcc_lo, 0, v52
	s_delay_alu instid0(VALU_DEP_2) | instskip(SKIP_1) | instid1(SALU_CYCLE_1)
	v_cmp_ne_u32_e64 s10, 0, v0
	s_and_b32 s12, s27, vcc_lo
	s_and_b32 s10, s12, s10
	s_delay_alu instid0(SALU_CYCLE_1)
	s_and_saveexec_b32 s12, s10
	s_cbranch_execz .LBB13_195
; %bb.194:                              ;   in Loop: Header=BB13_53 Depth=2
	ds_load_b64 v[0:1], v101 offset:8
	v_add_nc_u64_e32 v[38:39], 1, v[38:39]
	ds_store_b64 v101, v[38:39]
	s_wait_dscnt 0x1
	flat_store_b64 v[0:1], v[38:39] offset:104 th:TH_STORE_NT
.LBB13_195:                             ;   in Loop: Header=BB13_53 Depth=2
	s_wait_xcnt 0x0
	s_or_b32 exec_lo, exec_lo, s12
	ds_load_b32 v0, v0
	s_mov_b32 s12, exec_lo
	s_wait_dscnt 0x0
	v_cmpx_lt_i32_e32 -1, v0
	s_xor_b32 s12, exec_lo, s12
	s_cbranch_execnz .LBB13_204
; %bb.196:                              ;   in Loop: Header=BB13_53 Depth=2
	s_and_not1_saveexec_b32 s12, s12
	s_cbranch_execnz .LBB13_207
.LBB13_197:                             ;   in Loop: Header=BB13_53 Depth=2
	s_or_b32 exec_lo, exec_lo, s12
	s_and_saveexec_b32 s9, s6
	s_delay_alu instid0(SALU_CYCLE_1)
	s_xor_b32 s9, exec_lo, s9
	s_cbranch_execnz .LBB13_213
.LBB13_198:                             ;   in Loop: Header=BB13_53 Depth=2
	s_and_not1_saveexec_b32 s9, s9
	s_cbranch_execnz .LBB13_227
.LBB13_199:                             ;   in Loop: Header=BB13_53 Depth=2
	s_or_b32 exec_lo, exec_lo, s9
	s_and_saveexec_b32 s9, s11
	s_cbranch_execnz .LBB13_228
.LBB13_200:                             ;   in Loop: Header=BB13_53 Depth=2
	s_or_b32 exec_lo, exec_lo, s9
	s_and_saveexec_b32 s9, s10
	s_cbranch_execz .LBB13_202
.LBB13_201:                             ;   in Loop: Header=BB13_53 Depth=2
	ds_load_b64 v[0:1], v101 offset:32
	s_wait_dscnt 0x0
	flat_store_b64 v[0:1], v[38:39] th:TH_STORE_NT
.LBB13_202:                             ;   in Loop: Header=BB13_53 Depth=2
	s_wait_xcnt 0x0
	s_or_b32 exec_lo, exec_lo, s9
	s_delay_alu instid0(SALU_CYCLE_1)
	s_or_b32 exec_lo, exec_lo, s26
	s_and_saveexec_b32 s9, s8
	s_cbranch_execz .LBB13_52
.LBB13_203:                             ;   in Loop: Header=BB13_53 Depth=2
	s_wait_storecnt 0x0
	s_wait_loadcnt_dscnt 0x0
	ds_store_b32 v0, v18 offset:36
	s_branch .LBB13_52
.LBB13_204:                             ;   in Loop: Header=BB13_53 Depth=2
	v_and_b32_e32 v0, 4, v19
	s_mov_b32 s27, exec_lo
	s_delay_alu instid0(VALU_DEP_1)
	v_cmpx_ne_u32_e32 0, v0
	s_cbranch_execz .LBB13_206
; %bb.205:                              ;   in Loop: Header=BB13_53 Depth=2
	ds_load_2addr_b32 v[0:1], v0 offset0:2 offset1:4
	ds_load_b32 v4, v101 offset:64
	s_wait_dscnt 0x1
	v_dual_mov_b32 v2, v1 :: v_dual_ashrrev_i32 v3, 31, v1
	v_add_nc_u32_e32 v0, v0, v50
	s_delay_alu instid0(VALU_DEP_2) | instskip(NEXT) | instid1(VALU_DEP_2)
	v_add_nc_u64_e32 v[2:3], v[38:39], v[2:3]
	v_ashrrev_i32_e32 v1, 31, v0
	s_wait_dscnt 0x0
	s_delay_alu instid0(VALU_DEP_1) | instskip(NEXT) | instid1(VALU_DEP_1)
	v_mad_nc_u64_u32 v[0:1], v2, v4, v[0:1]
	v_mad_u32 v1, v3, v4, v1
	v_ashrrev_i32_e32 v3, 31, v4
	s_delay_alu instid0(VALU_DEP_1)
	v_mad_u32 v1, v2, v3, v1
	ds_max_i64 v101, v[0:1] offset:56
.LBB13_206:                             ;   in Loop: Header=BB13_53 Depth=2
	s_or_b32 exec_lo, exec_lo, s27
                                        ; implicit-def: $vgpr64_vgpr65
	s_and_not1_saveexec_b32 s12, s12
	s_cbranch_execz .LBB13_197
.LBB13_207:                             ;   in Loop: Header=BB13_53 Depth=2
	s_and_saveexec_b32 s27, s9
	s_cbranch_execz .LBB13_212
; %bb.208:                              ;   in Loop: Header=BB13_53 Depth=2
	v_mov_b64_e32 v[0:1], 0x8000000000000000
	s_mov_b32 s9, exec_lo
.LBB13_209:                             ;   Parent Loop BB13_4 Depth=1
                                        ;     Parent Loop BB13_53 Depth=2
                                        ; =>    This Inner Loop Header: Depth=3
	s_delay_alu instid0(SALU_CYCLE_1) | instskip(NEXT) | instid1(SALU_CYCLE_1)
	s_ctz_i32_b32 s40, s9
	v_readlane_b32 s29, v65, s40
	v_readlane_b32 s28, v64, s40
	s_delay_alu instid0(VALU_DEP_1) | instskip(SKIP_1) | instid1(SALU_CYCLE_1)
	v_max_i64 v[0:1], v[0:1], s[28:29]
	s_lshl_b32 s28, 1, s40
	s_and_not1_b32 s9, s9, s28
	s_delay_alu instid0(SALU_CYCLE_1)
	s_cmp_lg_u32 s9, 0
	s_cbranch_scc1 .LBB13_209
; %bb.210:                              ;   in Loop: Header=BB13_53 Depth=2
	v_mbcnt_lo_u32_b32 v2, exec_lo, 0
	s_mov_b32 s9, exec_lo
	s_delay_alu instid0(VALU_DEP_1)
	v_cmpx_eq_u32_e32 0, v2
	s_xor_b32 s9, exec_lo, s9
	s_cbranch_execz .LBB13_212
; %bb.211:                              ;   in Loop: Header=BB13_53 Depth=2
	ds_max_i64 v0, v[0:1]
	s_trap 2
.LBB13_212:                             ;   in Loop: Header=BB13_53 Depth=2
	s_or_b32 exec_lo, exec_lo, s27
	s_delay_alu instid0(SALU_CYCLE_1) | instskip(SKIP_1) | instid1(SALU_CYCLE_1)
	s_or_b32 exec_lo, exec_lo, s12
	s_and_saveexec_b32 s9, s6
	s_xor_b32 s9, exec_lo, s9
	s_cbranch_execz .LBB13_198
.LBB13_213:                             ;   in Loop: Header=BB13_53 Depth=2
	s_and_saveexec_b32 s12, s24
	s_cbranch_execz .LBB13_226
; %bb.214:                              ;   in Loop: Header=BB13_53 Depth=2
	s_mov_b32 s28, exec_lo
	s_mov_b32 s27, exec_lo
	v_mbcnt_lo_u32_b32 v0, s28, 0
	global_wb scope:SCOPE_DEV
	s_wait_storecnt 0x0
	s_wait_loadcnt_dscnt 0x0
	global_inv scope:SCOPE_DEV
	v_cmpx_eq_u32_e32 0, v0
	s_cbranch_execz .LBB13_216
; %bb.215:                              ;   in Loop: Header=BB13_53 Depth=2
	s_bcnt1_i32_b32 s28, s28
	s_delay_alu instid0(SALU_CYCLE_1)
	v_dual_mov_b32 v1, v18 :: v_dual_mov_b32 v0, s28
	s_wait_loadcnt 0x0
	ds_add_u64 v0, v[0:1]
	s_trap 2
.LBB13_216:                             ;   in Loop: Header=BB13_53 Depth=2
	s_or_b32 exec_lo, exec_lo, s27
	s_trap 2
	ds_load_b64 v[0:1], v0
	s_wait_dscnt 0x0
	v_add_nc_u64_e32 v[32:33], 4, v[32:33]
	s_mov_b32 s27, exec_lo
	s_delay_alu instid0(VALU_DEP_1)
	v_cmpx_lt_u64_e64 v[0:1], v[32:33]
	s_cbranch_execz .LBB13_225
; %bb.217:                              ;   in Loop: Header=BB13_53 Depth=2
	s_mov_b32 s28, 0
	s_mov_b32 s41, 0
                                        ; implicit-def: $sgpr29
                                        ; implicit-def: $sgpr40
	s_branch .LBB13_219
.LBB13_218:                             ;   in Loop: Header=BB13_219 Depth=3
	s_or_b32 exec_lo, exec_lo, s43
	s_delay_alu instid0(SALU_CYCLE_1) | instskip(NEXT) | instid1(SALU_CYCLE_1)
	s_and_b32 s42, exec_lo, s44
	s_or_b32 s28, s42, s28
	s_and_not1_b32 s29, s29, exec_lo
	s_and_b32 s42, s40, exec_lo
	s_delay_alu instid0(SALU_CYCLE_1)
	s_or_b32 s29, s29, s42
	s_and_not1_b32 exec_lo, exec_lo, s28
	s_cbranch_execz .LBB13_223
.LBB13_219:                             ;   Parent Loop BB13_4 Depth=1
                                        ;     Parent Loop BB13_53 Depth=2
                                        ; =>    This Inner Loop Header: Depth=3
	s_add_co_i32 s41, s41, 1
	s_delay_alu instid0(SALU_CYCLE_1) | instskip(SKIP_1) | instid1(SALU_CYCLE_1)
	s_cmp_lg_u32 s41, 0x2710
	s_cselect_b32 s42, -1, 0
	s_and_b32 vcc_lo, exec_lo, s42
	s_cbranch_vccz .LBB13_221
; %bb.220:                              ;   in Loop: Header=BB13_219 Depth=3
	s_mov_b32 s44, -1
	s_or_b32 s40, s40, exec_lo
	s_and_saveexec_b32 s43, s42
	s_cbranch_execz .LBB13_218
	s_branch .LBB13_222
.LBB13_221:                             ;   in Loop: Header=BB13_219 Depth=3
	s_trap 2
	ds_load_b64 v[0:1], v0
	s_and_not1_b32 s42, s42, exec_lo
	s_mov_b32 s41, 0
	s_wait_loadcnt_dscnt 0x0
	flat_load_b32 v0, v[0:1] scope:SCOPE_SYS
	s_wait_loadcnt_dscnt 0x0
	global_inv scope:SCOPE_SYS
	v_cmp_eq_u32_e32 vcc_lo, 0, v0
	s_and_b32 s43, vcc_lo, exec_lo
	s_delay_alu instid0(SALU_CYCLE_1)
	s_or_b32 s42, s42, s43
	s_mov_b32 s44, -1
	s_or_b32 s40, s40, exec_lo
	s_and_saveexec_b32 s43, s42
	s_cbranch_execz .LBB13_218
.LBB13_222:                             ;   in Loop: Header=BB13_219 Depth=3
	s_sleep 1
	s_trap 2
	ds_load_b64 v[0:1], v0
	s_wait_dscnt 0x0
	s_and_not1_b32 s40, s40, exec_lo
	v_cmp_ge_u64_e32 vcc_lo, v[0:1], v[32:33]
	s_or_not1_b32 s44, vcc_lo, exec_lo
	s_branch .LBB13_218
.LBB13_223:                             ;   in Loop: Header=BB13_53 Depth=2
	s_or_b32 exec_lo, exec_lo, s28
	s_and_saveexec_b32 s28, s29
	s_delay_alu instid0(SALU_CYCLE_1)
	s_xor_b32 s28, exec_lo, s28
	s_cbranch_execz .LBB13_225
; %bb.224:                              ;   in Loop: Header=BB13_53 Depth=2
	ds_store_b32 v0, v80
	s_trap 2
.LBB13_225:                             ;   in Loop: Header=BB13_53 Depth=2
	s_or_b32 exec_lo, exec_lo, s27
	;;#ASMSTART
	s_wakeup
	;;#ASMEND
.LBB13_226:                             ;   in Loop: Header=BB13_53 Depth=2
	s_or_b32 exec_lo, exec_lo, s12
	s_and_not1_saveexec_b32 s9, s9
	s_cbranch_execz .LBB13_199
.LBB13_227:                             ;   in Loop: Header=BB13_53 Depth=2
	global_wb scope:SCOPE_DEV
	s_wait_storecnt 0x0
	s_wait_loadcnt_dscnt 0x0
	global_inv scope:SCOPE_DEV
	s_barrier_signal -1
	s_barrier_wait -1
	s_or_b32 exec_lo, exec_lo, s9
	s_and_saveexec_b32 s9, s11
	s_cbranch_execz .LBB13_200
.LBB13_228:                             ;   in Loop: Header=BB13_53 Depth=2
	ds_load_b64 v[0:1], v101 offset:40
	s_wait_dscnt 0x0
	flat_store_b64 v[0:1], v[38:39] th:TH_STORE_NT
	s_wait_xcnt 0x0
	s_or_b32 exec_lo, exec_lo, s9
	s_and_saveexec_b32 s9, s10
	s_cbranch_execnz .LBB13_201
	s_branch .LBB13_202
.LBB13_229:                             ;   in Loop: Header=BB13_4 Depth=1
	s_or_b32 exec_lo, exec_lo, s25
	v_and_b32_e32 v0, 0x800, v19
	s_delay_alu instid0(VALU_DEP_1)
	v_cmp_eq_u32_e32 vcc_lo, 0, v0
	s_and_b32 exec_lo, exec_lo, vcc_lo
	s_cbranch_execz .LBB13_258
; %bb.230:                              ;   in Loop: Header=BB13_4 Depth=1
	v_and_b32_e32 v0, 48, v19
	s_mov_b32 s7, exec_lo
	s_delay_alu instid0(VALU_DEP_1)
	v_cmpx_ne_u32_e32 0, v0
	s_cbranch_execz .LBB13_232
; %bb.231:                              ;   in Loop: Header=BB13_4 Depth=1
	v_mov_b64_e32 v[0:1], 0x68
	flat_store_b64 v[0:1], v[38:39]
.LBB13_232:                             ;   in Loop: Header=BB13_4 Depth=1
	s_wait_xcnt 0x0
	s_or_b32 exec_lo, exec_lo, s7
	v_and_b32_e32 v0, 0x88, v19
	s_mov_b32 s8, exec_lo
	s_delay_alu instid0(VALU_DEP_1)
	v_cmpx_eq_u32_e32 0x88, v0
	s_cbranch_execz .LBB13_242
; %bb.233:                              ;   in Loop: Header=BB13_4 Depth=1
	v_dual_add_nc_u32 v0, -1, v38 :: v_dual_bitop2_b32 v4, 64, v19 bitop3:0x40
	s_delay_alu instid0(VALU_DEP_1) | instskip(NEXT) | instid1(VALU_DEP_2)
	v_and_b32_e32 v0, 7, v0
	v_cmp_eq_u32_e64 s7, 0, v4
	s_delay_alu instid0(VALU_DEP_2)
	v_mul_hi_u32_u24_e32 v1, 24, v0
	v_mul_u32_u24_e32 v0, 24, v0
	flat_load_b64 v[2:3], v[0:1] offset:8 scope:SCOPE_SYS
	s_wait_loadcnt_dscnt 0x0
	v_cmp_ne_u64_e32 vcc_lo, -1, v[2:3]
	s_and_b32 s7, s7, vcc_lo
	s_wait_xcnt 0x0
	s_and_b32 exec_lo, exec_lo, s7
	s_cbranch_execz .LBB13_242
; %bb.234:                              ;   in Loop: Header=BB13_4 Depth=1
	s_mov_b32 s7, 0
	s_mov_b32 s11, 0
                                        ; implicit-def: $sgpr9
                                        ; implicit-def: $sgpr10
	s_branch .LBB13_236
.LBB13_235:                             ;   in Loop: Header=BB13_236 Depth=2
	s_wait_xcnt 0x0
	s_or_b32 exec_lo, exec_lo, s26
	s_delay_alu instid0(SALU_CYCLE_1) | instskip(NEXT) | instid1(SALU_CYCLE_1)
	s_and_b32 s12, exec_lo, s25
	s_or_b32 s7, s12, s7
	s_and_not1_b32 s9, s9, exec_lo
	s_and_b32 s12, s10, exec_lo
	s_delay_alu instid0(SALU_CYCLE_1)
	s_or_b32 s9, s9, s12
	s_and_not1_b32 exec_lo, exec_lo, s7
	s_cbranch_execz .LBB13_240
.LBB13_236:                             ;   Parent Loop BB13_4 Depth=1
                                        ; =>  This Inner Loop Header: Depth=2
	s_cmp_lt_i32 s11, 0x270f
	s_cselect_b32 s12, -1, 0
	s_delay_alu instid0(SALU_CYCLE_1)
	s_and_b32 vcc_lo, exec_lo, s12
	s_cbranch_vccnz .LBB13_238
; %bb.237:                              ;   in Loop: Header=BB13_236 Depth=2
	s_trap 2
	ds_load_b64 v[2:3], v0
	s_and_not1_b32 s12, s12, exec_lo
	s_mov_b32 s11, 0
	s_wait_storecnt_dscnt 0x0
	flat_load_b32 v2, v[2:3] scope:SCOPE_SYS
	s_wait_loadcnt_dscnt 0x0
	global_inv scope:SCOPE_SYS
	v_cmp_eq_u32_e32 vcc_lo, 0, v2
	s_and_b32 s25, vcc_lo, exec_lo
	s_delay_alu instid0(SALU_CYCLE_1)
	s_or_b32 s12, s12, s25
	s_mov_b32 s25, -1
	s_or_b32 s10, s10, exec_lo
	s_wait_xcnt 0x0
	s_and_saveexec_b32 s26, s12
	s_cbranch_execz .LBB13_235
	s_branch .LBB13_239
.LBB13_238:                             ;   in Loop: Header=BB13_236 Depth=2
	s_add_co_i32 s11, s11, 1
                                        ; implicit-def: $vgpr2
	s_mov_b32 s25, -1
	s_or_b32 s10, s10, exec_lo
	s_and_saveexec_b32 s26, s12
	s_cbranch_execz .LBB13_235
.LBB13_239:                             ;   in Loop: Header=BB13_236 Depth=2
	flat_load_b64 v[4:5], v[0:1] offset:8 scope:SCOPE_SYS
	s_wait_loadcnt 0x0
	s_and_not1_b32 s10, s10, exec_lo
	s_wait_dscnt 0x0
	v_cmp_eq_u64_e32 vcc_lo, -1, v[4:5]
	s_or_not1_b32 s25, vcc_lo, exec_lo
	s_branch .LBB13_235
.LBB13_240:                             ;   in Loop: Header=BB13_4 Depth=1
	s_or_b32 exec_lo, exec_lo, s7
	s_and_saveexec_b32 s7, s9
	s_delay_alu instid0(SALU_CYCLE_1)
	s_xor_b32 s7, exec_lo, s7
	s_cbranch_execz .LBB13_242
; %bb.241:                              ;   in Loop: Header=BB13_4 Depth=1
	s_wait_loadcnt 0x0
	s_wait_storecnt 0x0
	ds_store_b32 v0, v2
	s_trap 2
.LBB13_242:                             ;   in Loop: Header=BB13_4 Depth=1
	s_or_b32 exec_lo, exec_lo, s8
	v_cmp_ne_u32_e32 vcc_lo, 1, v28
	s_and_b32 exec_lo, exec_lo, vcc_lo
	s_cbranch_execz .LBB13_258
; %bb.243:                              ;   in Loop: Header=BB13_4 Depth=1
	s_and_saveexec_b32 s7, s6
	s_delay_alu instid0(SALU_CYCLE_1)
	s_xor_b32 s6, exec_lo, s7
	s_cbranch_execz .LBB13_256
; %bb.244:                              ;   in Loop: Header=BB13_4 Depth=1
	s_and_saveexec_b32 s7, s24
	s_cbranch_execz .LBB13_255
; %bb.245:                              ;   in Loop: Header=BB13_4 Depth=1
	v_mov_b64_e32 v[0:1], 1
	global_wb scope:SCOPE_DEV
	s_wait_storecnt 0x0
	s_wait_loadcnt_dscnt 0x0
	global_inv scope:SCOPE_DEV
	v_ashrrev_i32_e32 v29, 31, v28
	s_mov_b32 s8, exec_lo
	s_wait_loadcnt 0x0
	ds_add_u64 v0, v[0:1] offset:856
	ds_load_b64 v[0:1], v0 offset:856
	s_wait_dscnt 0x0
	v_cmpx_lt_u64_e64 v[0:1], v[28:29]
	s_cbranch_execz .LBB13_254
; %bb.246:                              ;   in Loop: Header=BB13_4 Depth=1
	s_mov_b32 s9, 0
	s_mov_b32 s12, 0
                                        ; implicit-def: $sgpr10
                                        ; implicit-def: $sgpr11
	s_branch .LBB13_248
.LBB13_247:                             ;   in Loop: Header=BB13_248 Depth=2
	s_or_b32 exec_lo, exec_lo, s26
	s_delay_alu instid0(SALU_CYCLE_1) | instskip(NEXT) | instid1(SALU_CYCLE_1)
	s_and_b32 s24, exec_lo, s25
	s_or_b32 s9, s24, s9
	s_and_not1_b32 s10, s10, exec_lo
	s_and_b32 s24, s11, exec_lo
	s_delay_alu instid0(SALU_CYCLE_1)
	s_or_b32 s10, s10, s24
	s_and_not1_b32 exec_lo, exec_lo, s9
	s_cbranch_execz .LBB13_252
.LBB13_248:                             ;   Parent Loop BB13_4 Depth=1
                                        ; =>  This Inner Loop Header: Depth=2
	s_add_co_i32 s12, s12, 1
	s_delay_alu instid0(SALU_CYCLE_1) | instskip(SKIP_1) | instid1(SALU_CYCLE_1)
	s_cmp_lg_u32 s12, 0x2710
	s_cselect_b32 s24, -1, 0
	s_and_b32 vcc_lo, exec_lo, s24
	s_cbranch_vccz .LBB13_250
; %bb.249:                              ;   in Loop: Header=BB13_248 Depth=2
	s_mov_b32 s25, -1
	s_or_b32 s11, s11, exec_lo
	s_and_saveexec_b32 s26, s24
	s_cbranch_execz .LBB13_247
	s_branch .LBB13_251
.LBB13_250:                             ;   in Loop: Header=BB13_248 Depth=2
	s_trap 2
	ds_load_b64 v[0:1], v0
	s_and_not1_b32 s24, s24, exec_lo
	s_mov_b32 s12, 0
	s_wait_dscnt 0x0
	flat_load_b32 v0, v[0:1] scope:SCOPE_SYS
	s_wait_loadcnt_dscnt 0x0
	global_inv scope:SCOPE_SYS
	v_cmp_eq_u32_e32 vcc_lo, 0, v0
	s_and_b32 s25, vcc_lo, exec_lo
	s_delay_alu instid0(SALU_CYCLE_1)
	s_or_b32 s24, s24, s25
	s_mov_b32 s25, -1
	s_or_b32 s11, s11, exec_lo
	s_wait_xcnt 0x0
	s_and_saveexec_b32 s26, s24
	s_cbranch_execz .LBB13_247
.LBB13_251:                             ;   in Loop: Header=BB13_248 Depth=2
	s_sleep 1
	ds_load_b64 v[0:1], v0 offset:856
	s_wait_dscnt 0x0
	s_and_not1_b32 s11, s11, exec_lo
	v_cmp_ge_u64_e32 vcc_lo, v[0:1], v[28:29]
	s_or_not1_b32 s25, vcc_lo, exec_lo
	s_branch .LBB13_247
.LBB13_252:                             ;   in Loop: Header=BB13_4 Depth=1
	s_or_b32 exec_lo, exec_lo, s9
	s_and_saveexec_b32 s9, s10
	s_delay_alu instid0(SALU_CYCLE_1)
	s_xor_b32 s9, exec_lo, s9
	s_cbranch_execz .LBB13_254
; %bb.253:                              ;   in Loop: Header=BB13_4 Depth=1
	ds_store_b32 v0, v80
	s_trap 2
.LBB13_254:                             ;   in Loop: Header=BB13_4 Depth=1
	s_or_b32 exec_lo, exec_lo, s8
	;;#ASMSTART
	s_wakeup
	;;#ASMEND
.LBB13_255:                             ;   in Loop: Header=BB13_4 Depth=1
	s_or_b32 exec_lo, exec_lo, s7
.LBB13_256:                             ;   in Loop: Header=BB13_4 Depth=1
	s_and_not1_saveexec_b32 s6, s6
	s_cbranch_execz .LBB13_258
; %bb.257:                              ;   in Loop: Header=BB13_4 Depth=1
	global_wb scope:SCOPE_DEV
	s_wait_storecnt 0x0
	s_wait_loadcnt_dscnt 0x0
	global_inv scope:SCOPE_DEV
	s_barrier_signal -1
	s_barrier_wait -1
.LBB13_258:                             ;   in Loop: Header=BB13_4 Depth=1
	s_or_b32 exec_lo, exec_lo, s23
                                        ; implicit-def: $vgpr2_vgpr3
                                        ; implicit-def: $vgpr8_vgpr9
                                        ; implicit-def: $vgpr6_vgpr7
                                        ; implicit-def: $vgpr10_vgpr11
                                        ; implicit-def: $vgpr4_vgpr5
.LBB13_259:                             ;   in Loop: Header=BB13_4 Depth=1
	s_and_not1_saveexec_b32 s6, s22
	s_cbranch_execz .LBB13_3
; %bb.260:                              ;   in Loop: Header=BB13_4 Depth=1
	v_sub_nc_u32_e64 v0, s20, 1 clamp
	v_add_nc_u64_e32 v[12:13], v[8:9], v[6:7]
	v_add_nc_u64_e32 v[6:7], v[4:5], v[2:3]
	v_dual_mov_b32 v8, s21 :: v_dual_mov_b32 v9, s20
	s_delay_alu instid0(VALU_DEP_4)
	v_readfirstlane_b32 s6, v0
	v_and_b32_e32 v0, 0x3ffffe00, v10
	s_mov_b32 s7, 1
	s_clause 0x1
	scratch_store_b128 off, v[4:7], s32
	scratch_store_b64 off, v[12:13], s32 offset:16
	s_clz_i32_u32 s6, s6
	s_delay_alu instid0(SALU_CYCLE_1) | instskip(NEXT) | instid1(SALU_CYCLE_1)
	s_sub_co_i32 s6, 32, s6
	s_lshl_b32 s6, 1, s6
	s_cmp_gt_u32 s20, 1
	s_cselect_b32 s11, s6, 1
	s_lshr_b32 s6, s20, 31
	v_dual_mov_b32 v1, v18 :: v_dual_mov_b32 v10, s11
	s_add_co_i32 s20, s20, s6
	s_clause 0x3
	scratch_store_b32 off, v0, s32 offset:24
	scratch_store_b96 off, v[8:10], s32 offset:32
	scratch_store_b32 off, v10, s32 offset:68
	scratch_store_b64 off, v[22:23], s32 offset:52
	s_ashr_i32 s9, s20, 1
	s_branch .LBB13_262
.LBB13_261:                             ;   in Loop: Header=BB13_262 Depth=2
	s_and_not1_b32 vcc_lo, exec_lo, s12
	s_cbranch_vccz .LBB13_266
.LBB13_262:                             ;   Parent Loop BB13_4 Depth=1
                                        ; =>  This Inner Loop Header: Depth=2
	s_mov_b32 s6, s7
	s_ashr_i32 s7, s7, 31
	s_wait_xcnt 0x5
	v_mov_b64_e32 v[6:7], 0
	s_wait_xcnt 0x0
	v_mul_u64_e32 v[4:5], s[6:7], v[2:3]
	s_mov_b32 s8, s11
	s_delay_alu instid0(VALU_DEP_1)
	v_cmp_lt_u64_e32 vcc_lo, v[0:1], v[4:5]
	s_cbranch_vccnz .LBB13_264
; %bb.263:                              ;   in Loop: Header=BB13_262 Depth=2
	v_cvt_f32_u32_e32 v5, v4
	v_sub_nc_u32_e32 v6, 0, v4
	s_delay_alu instid0(VALU_DEP_2) | instskip(SKIP_1) | instid1(TRANS32_DEP_1)
	v_rcp_iflag_f32_e32 v5, v5
	v_nop
	v_mul_f32_e32 v5, 0x4f7ffffe, v5
	s_delay_alu instid0(VALU_DEP_1) | instskip(NEXT) | instid1(VALU_DEP_1)
	v_cvt_u32_f32_e32 v5, v5
	v_mul_lo_u32 v6, v6, v5
	s_delay_alu instid0(VALU_DEP_1) | instskip(NEXT) | instid1(VALU_DEP_1)
	v_mul_hi_u32 v6, v5, v6
	v_add_nc_u32_e32 v5, v5, v6
	s_delay_alu instid0(VALU_DEP_1) | instskip(NEXT) | instid1(VALU_DEP_1)
	v_mul_hi_u32 v5, v0, v5
	v_mul_lo_u32 v6, v5, v4
	s_delay_alu instid0(VALU_DEP_1) | instskip(SKIP_1) | instid1(VALU_DEP_1)
	v_dual_sub_nc_u32 v6, v0, v6 :: v_dual_add_nc_u32 v7, 1, v5
	s_wait_xcnt 0x2
	v_sub_nc_u32_e32 v8, v6, v4
	v_cmp_ge_u32_e32 vcc_lo, v6, v4
	s_delay_alu instid0(VALU_DEP_2) | instskip(NEXT) | instid1(VALU_DEP_1)
	v_dual_cndmask_b32 v6, v6, v8 :: v_dual_cndmask_b32 v5, v5, v7
	v_cmp_ge_u32_e32 vcc_lo, v6, v4
	s_delay_alu instid0(VALU_DEP_2) | instskip(NEXT) | instid1(VALU_DEP_1)
	v_add_nc_u32_e32 v7, 1, v5
	v_dual_cndmask_b32 v6, v5, v7 :: v_dual_mov_b32 v7, v18
.LBB13_264:                             ;   in Loop: Header=BB13_262 Depth=2
	s_delay_alu instid0(VALU_DEP_1)
	v_cmp_gt_u64_e32 vcc_lo, 2, v[6:7]
	s_cmp_lt_i32 s6, s9
	s_mov_b32 s12, -1
	s_cselect_b32 s10, -1, 0
	s_cmp_ge_i32 s6, s9
                                        ; implicit-def: $sgpr11
	s_cselect_b32 s7, -1, 0
	s_delay_alu instid0(SALU_CYCLE_1) | instskip(NEXT) | instid1(SALU_CYCLE_1)
	s_or_b32 s7, s7, vcc_lo
	s_and_b32 vcc_lo, exec_lo, s7
                                        ; implicit-def: $sgpr7
	s_cbranch_vccnz .LBB13_261
; %bb.265:                              ;   in Loop: Header=BB13_262 Depth=2
	s_lshr_b32 s7, s8, 31
	s_mov_b32 s12, 0
	s_add_co_i32 s11, s8, s7
	s_lshl_b32 s7, s6, 1
	s_ashr_i32 s11, s11, 1
	s_delay_alu instid0(SALU_CYCLE_1)
	v_dual_mov_b32 v4, s7 :: v_dual_mov_b32 v5, s11
	s_clause 0x1
	scratch_store_b32 off, v4, s32 offset:56
	scratch_store_b32 off, v5, s32 offset:68
	s_branch .LBB13_261
.LBB13_266:                             ;   in Loop: Header=BB13_4 Depth=1
	s_wait_xcnt 0x1
	v_mov_b32_e32 v4, s6
	s_cmp_gt_i32 s6, 3
	s_mov_b32 s7, 4
	scratch_store_b32 off, v4, s32 offset:44
	s_cbranch_scc1 .LBB13_268
; %bb.267:                              ;   in Loop: Header=BB13_4 Depth=1
	s_wait_xcnt 0x0
	v_mov_b32_e32 v4, s6
	s_mov_b32 s7, s6
	scratch_store_b32 off, v4, s32 offset:52
.LBB13_268:                             ;   in Loop: Header=BB13_4 Depth=1
	s_and_not1_b32 vcc_lo, exec_lo, s10
	s_cbranch_vccnz .LBB13_273
; %bb.269:                              ;   in Loop: Header=BB13_4 Depth=1
	s_lshr_b32 s10, s8, 31
	s_delay_alu instid0(SALU_CYCLE_1)
	s_add_co_i32 s11, s8, s10
	s_lshl_b32 s10, s6, 1
	s_ashr_i32 s11, s11, 1
	s_wait_xcnt 0x0
	v_dual_mov_b32 v4, s10 :: v_dual_mov_b32 v5, s11
	s_cmp_ge_i32 s10, s9
	s_clause 0x1
	scratch_store_b32 off, v4, s32 offset:56
	scratch_store_b32 off, v5, s32 offset:68
	s_cbranch_scc1 .LBB13_272
; %bb.270:                              ;   in Loop: Header=BB13_4 Depth=1
	s_ashr_i32 s12, s8, 31
	s_delay_alu instid0(SALU_CYCLE_1) | instskip(NEXT) | instid1(SALU_CYCLE_1)
	s_lshr_b32 s10, s12, 30
	s_add_co_i32 s11, s8, s10
	s_lshl_b32 s10, s6, 2
	s_ashr_i32 s11, s11, 2
	s_wait_xcnt 0x0
	v_dual_mov_b32 v4, s10 :: v_dual_mov_b32 v5, s11
	s_cmp_ge_i32 s10, s9
	s_clause 0x1
	scratch_store_b32 off, v4, s32 offset:56
	scratch_store_b32 off, v5, s32 offset:68
	s_cbranch_scc1 .LBB13_272
; %bb.271:                              ;   in Loop: Header=BB13_4 Depth=1
	s_lshr_b32 s9, s12, 29
	s_lshl_b32 s10, s6, 3
	s_add_co_i32 s8, s8, s9
	s_delay_alu instid0(SALU_CYCLE_1)
	s_ashr_i32 s11, s8, 3
	s_wait_xcnt 0x0
	v_dual_mov_b32 v4, s10 :: v_dual_mov_b32 v5, s11
	s_clause 0x1
	scratch_store_b32 off, v4, s32 offset:56
	scratch_store_b32 off, v5, s32 offset:68
.LBB13_272:                             ;   in Loop: Header=BB13_4 Depth=1
	s_mov_b32 s6, s10
	s_mov_b32 s8, s11
.LBB13_273:                             ;   in Loop: Header=BB13_4 Depth=1
	s_wait_xcnt 0x0
	v_sub_nc_u32_e64 v4, s8, 1 clamp
	v_min_i64 v[6:7], v[0:1], v[2:3]
	v_mov_b32_e32 v0, 0
	s_delay_alu instid0(VALU_DEP_3) | instskip(SKIP_1) | instid1(SALU_CYCLE_1)
	v_readfirstlane_b32 s9, v4
	s_clz_i32_u32 s20, s9
	s_sub_co_i32 s11, 32, s20
	s_cmp_lt_u32 s8, 2
	s_cselect_b32 s8, -1, 0
	s_delay_alu instid0(SALU_CYCLE_1)
	s_and_b32 vcc_lo, s8, exec_lo
	s_cselect_b32 s9, 0, s11
	s_lshr_b32 s8, s6, 31
	s_add_co_i32 s10, s6, -2
	s_add_co_i32 s8, s6, s8
	v_dual_mov_b32 v5, v18 :: v_dual_mov_b32 v4, s9
	s_ashr_i32 s8, s8, 1
	s_cmp_lt_u32 s10, -3
	s_cselect_b32 s10, -1, 0
	s_delay_alu instid0(SALU_CYCLE_1) | instskip(SKIP_1) | instid1(SALU_CYCLE_1)
	s_and_b32 s12, s10, exec_lo
	s_cselect_b32 s12, 2, 1
	v_dual_mov_b32 v2, s8 :: v_dual_mov_b32 v3, s12
	s_mov_b32 s12, 0
	s_clause 0x1
	scratch_store_b32 off, v6, s32 offset:28
	scratch_store_b128 off, v[2:5], s32 offset:72
	s_cbranch_vccnz .LBB13_289
; %bb.274:                              ;   in Loop: Header=BB13_4 Depth=1
	s_cmp_eq_u32 s20, 31
	s_mov_b32 s20, -1
	s_cbranch_scc1 .LBB13_278
; %bb.275:                              ;   in Loop: Header=BB13_4 Depth=1
	s_and_b32 s12, s11, 62
	s_mov_b32 s20, s11
	s_mov_b32 s21, 1
	;; [unrolled: 1-line block ×5, first 2 shown]
.LBB13_276:                             ;   Parent Loop BB13_4 Depth=1
                                        ; =>  This Inner Loop Header: Depth=2
	s_sub_co_i32 s25, s20, s21
	s_sub_co_i32 s26, s11, s22
	s_delay_alu instid0(SALU_CYCLE_1)
	v_dual_mov_b32 v1, s25 :: v_dual_mov_b32 v0, s26
	s_add_co_i32 s23, s23, -2
	s_add_co_i32 s22, s22, 2
	s_add_co_i32 s21, s21, 2
	s_clause 0x1
	scratch_store_b64 off, v[0:1], s24 offset:-128
	scratch_store_b64 off, v[24:25], s24
	s_wait_xcnt 0x0
	s_add_co_i32 s24, s24, 8
	s_cmp_lg_u32 s23, 0
	s_cbranch_scc1 .LBB13_276
; %bb.277:                              ;   in Loop: Header=BB13_4 Depth=1
	s_cmp_lg_u32 s11, s12
	s_cselect_b32 s20, -1, 0
.LBB13_278:                             ;   in Loop: Header=BB13_4 Depth=1
	s_delay_alu instid0(SALU_CYCLE_1)
	s_and_b32 vcc_lo, exec_lo, s20
	s_cbranch_vccz .LBB13_281
; %bb.279:                              ;   in Loop: Header=BB13_4 Depth=1
	s_lshl_b32 s20, s12, 2
	s_sub_co_i32 s11, s11, s12
	s_add_co_i32 s20, s17, s20
.LBB13_280:                             ;   Parent Loop BB13_4 Depth=1
                                        ; =>  This Inner Loop Header: Depth=2
	v_mov_b32_e32 v0, s11
	s_add_co_i32 s11, s11, -1
	s_clause 0x1
	scratch_store_b32 off, v0, s20 offset:-128
	scratch_store_b32 off, v80, s20
	s_wait_xcnt 0x0
	s_add_co_i32 s20, s20, 4
	s_cmp_eq_u32 s11, 0
	s_cbranch_scc0 .LBB13_280
.LBB13_281:                             ;   in Loop: Header=BB13_4 Depth=1
	v_mov_b32_e32 v0, 0
	s_mov_b32 s11, 0
	s_mov_b32 s12, s17
	s_branch .LBB13_285
.LBB13_282:                             ;   in Loop: Header=BB13_285 Depth=2
	s_wait_xcnt 0x0
	s_or_b32 exec_lo, exec_lo, s23
	v_add_nc_u32_e32 v0, 1, v2
	scratch_store_b32 off, v0, s12
.LBB13_283:                             ;   in Loop: Header=BB13_285 Depth=2
	s_wait_xcnt 0x0
	s_or_b32 exec_lo, exec_lo, s21
	v_mov_b32_e32 v0, v1
.LBB13_284:                             ;   in Loop: Header=BB13_285 Depth=2
	s_or_b32 exec_lo, exec_lo, s20
	s_add_co_i32 s11, s11, 1
	s_add_co_i32 s12, s12, 4
	s_cmp_lg_u32 s9, s11
	s_cbranch_scc0 .LBB13_289
.LBB13_285:                             ;   Parent Loop BB13_4 Depth=1
                                        ; =>  This Inner Loop Header: Depth=2
	scratch_load_b32 v1, off, s12 offset:-128
	s_mov_b32 s20, exec_lo
	s_wait_loadcnt 0x0
	v_add_nc_u32_e32 v1, -1, v1
	scratch_store_b32 off, v1, s12 offset:-128
	s_wait_xcnt 0x0
	v_cmpx_eq_u32_e32 0, v1
	s_cbranch_execz .LBB13_284
; %bb.286:                              ;   in Loop: Header=BB13_285 Depth=2
	s_lshl_b32 s22, 1, s11
	s_mov_b32 s21, exec_lo
	v_dual_mov_b32 v3, s22 :: v_dual_bitop2_b32 v2, s22, v0 bitop3:0x40
	v_xor_b32_e32 v1, s22, v0
	scratch_store_b32 off, v1, s32 offset:84
	scratch_store_b32 off, v3, s12 offset:-128
	s_wait_xcnt 0x0
	v_cmpx_ne_u32_e32 0, v2
	s_cbranch_execz .LBB13_283
; %bb.287:                              ;   in Loop: Header=BB13_285 Depth=2
	scratch_load_b32 v2, off, s12
	s_mov_b32 s23, exec_lo
	s_wait_loadcnt 0x0
	v_ctz_i32_b32_e32 v3, v2
	v_cmp_eq_u32_e32 vcc_lo, 0, v2
	s_delay_alu instid0(VALU_DEP_2) | instskip(NEXT) | instid1(VALU_DEP_1)
	v_cndmask_b32_e64 v3, v3, s9, vcc_lo
	v_add3_u32 v3, s22, -1, v3
	scratch_store_b32 off, v3, s12 offset:-128
	s_wait_xcnt 0x0
	v_cmpx_eq_u32_e32 0, v3
	s_cbranch_execz .LBB13_282
; %bb.288:                              ;   in Loop: Header=BB13_285 Depth=2
	v_dual_mov_b32 v3, s22 :: v_dual_mov_b32 v1, v0
	scratch_store_b32 off, v0, s32 offset:84
	scratch_store_b32 off, v3, s12 offset:-128
	s_branch .LBB13_282
.LBB13_289:                             ;   in Loop: Header=BB13_4 Depth=1
	v_mov_b32_e32 v1, v18
	s_and_not1_b32 vcc_lo, exec_lo, s10
	scratch_store_b64 off, v[0:1], s32 offset:60
	s_cbranch_vccnz .LBB13_291
; %bb.290:                              ;   in Loop: Header=BB13_4 Depth=1
	s_lshl_b32 s9, s8, 1
	s_ashr_i32 s8, s8, 31
	s_abs_i32 s12, s6
	s_add_co_i32 s9, s9, s8
	s_ashr_i32 s6, s6, 31
	s_xor_b32 s9, s9, s8
	s_xor_b32 s6, s6, s8
	s_cvt_f32_u32 s10, s9
	s_sub_co_i32 s11, 0, s9
	s_wait_xcnt 0x0
	s_delay_alu instid0(SALU_CYCLE_1) | instskip(SKIP_1) | instid1(TRANS32_DEP_1)
	v_rcp_iflag_f32_e32 v0, s10
	v_nop
	v_readfirstlane_b32 s10, v0
	s_mul_f32 s10, s10, 0x4f7ffffe
	s_delay_alu instid0(SALU_CYCLE_3) | instskip(NEXT) | instid1(SALU_CYCLE_3)
	s_cvt_u32_f32 s10, s10
	s_mul_i32 s11, s11, s10
	s_delay_alu instid0(SALU_CYCLE_1) | instskip(NEXT) | instid1(SALU_CYCLE_1)
	s_mul_hi_u32 s11, s10, s11
	s_add_co_i32 s10, s10, s11
	s_delay_alu instid0(SALU_CYCLE_1) | instskip(NEXT) | instid1(SALU_CYCLE_1)
	s_mul_hi_u32 s10, s12, s10
	s_mul_i32 s11, s10, s9
	s_delay_alu instid0(SALU_CYCLE_1)
	s_sub_co_i32 s8, s12, s11
	s_add_co_i32 s11, s10, 1
	s_sub_co_i32 s12, s8, s9
	s_cmp_ge_u32 s8, s9
	s_cselect_b32 s10, s11, s10
	s_cselect_b32 s8, s12, s8
	s_add_co_i32 s11, s10, 1
	s_cmp_ge_u32 s8, s9
	s_cselect_b32 s8, s11, s10
	s_delay_alu instid0(SALU_CYCLE_1) | instskip(NEXT) | instid1(SALU_CYCLE_1)
	s_xor_b32 s8, s8, s6
	s_sub_co_i32 s6, s8, s6
.LBB13_291:                             ;   in Loop: Header=BB13_4 Depth=1
	s_wait_xcnt 0x0
	v_dual_mov_b32 v0, s6 :: v_dual_mov_b32 v1, s7
	s_mov_b32 s10, 0
	s_mov_b32 s11, 0
	scratch_store_b32 off, v0, s32 offset:48
	ds_store_b32 v0, v1
	s_trap 2
	s_branch .LBB13_294
.LBB13_292:                             ;   in Loop: Header=BB13_294 Depth=2
	s_or_b32 exec_lo, exec_lo, s6
	s_delay_alu instid0(SALU_CYCLE_1)
	s_and_not1_b32 s12, s12, exec_lo
.LBB13_293:                             ;   in Loop: Header=BB13_294 Depth=2
	s_or_b32 exec_lo, exec_lo, s8
	v_cndmask_b32_e64 v0, 1, 3, s7
	s_add_co_i32 s11, s11, 1
	s_and_b32 s6, exec_lo, s12
	s_delay_alu instid0(SALU_CYCLE_1)
	s_or_b32 s10, s6, s10
	ds_store_b32 v0, v0 offset:36
	s_and_not1_b32 exec_lo, exec_lo, s10
	s_cbranch_execz .LBB13_2
.LBB13_294:                             ;   Parent Loop BB13_4 Depth=1
                                        ; =>  This Loop Header: Depth=2
                                        ;       Child Loop BB13_295 Depth 3
                                        ;       Child Loop BB13_354 Depth 3
	;; [unrolled: 1-line block ×5, first 2 shown]
	s_trap 2
.LBB13_295:                             ;   Parent Loop BB13_4 Depth=1
                                        ;     Parent Loop BB13_294 Depth=2
                                        ; =>    This Inner Loop Header: Depth=3
	s_wait_xcnt 0x0
	ds_load_b32 v0, v0 offset:36
	s_wait_dscnt 0x0
	v_cmp_ne_u32_e32 vcc_lo, 0, v0
	s_cbranch_vccnz .LBB13_295
; %bb.296:                              ;   in Loop: Header=BB13_294 Depth=2
	s_clause 0x4
	scratch_load_b32 v11, off, s32 offset:64
	scratch_load_b32 v10, off, s32 offset:76
	;; [unrolled: 1-line block ×4, first 2 shown]
	scratch_load_b64 v[4:5], off, s32
	s_mov_b32 s7, -1
	s_mov_b32 s12, exec_lo
	s_wait_loadcnt 0x1
	ds_store_2addr_b32 v0, v13, v18 offset0:7 offset1:8
	s_wait_loadcnt 0x0
	ds_store_b64 v0, v[4:5] offset:40
	s_wait_xcnt 0x0
	v_cmpx_lt_i32_e64 v11, v12
	s_cbranch_execz .LBB13_332
; %bb.297:                              ;   in Loop: Header=BB13_294 Depth=2
                                        ; implicit-def: $sgpr21
	s_mov_b32 s6, exec_lo
	v_cmpx_lt_i32_e32 0, v10
	s_xor_b32 s20, exec_lo, s6
	s_cbranch_execz .LBB13_325
; %bb.298:                              ;   in Loop: Header=BB13_294 Depth=2
                                        ; implicit-def: $sgpr21
	s_mov_b32 s6, exec_lo
	v_cmpx_lt_i32_e32 1, v10
	s_xor_b32 s7, exec_lo, s6
	s_cbranch_execz .LBB13_310
; %bb.299:                              ;   in Loop: Header=BB13_294 Depth=2
	s_mov_b32 s21, 0
	s_mov_b32 s8, exec_lo
	v_cmpx_eq_u32_e32 2, v10
	s_cbranch_execz .LBB13_309
; %bb.300:                              ;   in Loop: Header=BB13_294 Depth=2
	s_clause 0x1
	scratch_load_b32 v6, off, s32 offset:44
	scratch_load_b64 v[2:3], off, s32 offset:68
	s_mov_b32 s6, exec_lo
                                        ; implicit-def: $vgpr16
                                        ; implicit-def: $vgpr17
	s_wait_loadcnt 0x1
	v_dual_ashrrev_i32 v15, 31, v11 :: v_dual_sub_nc_u32 v0, 0, v6
	s_delay_alu instid0(VALU_DEP_1) | instskip(NEXT) | instid1(VALU_DEP_1)
	v_max_i32_e32 v7, v6, v0
	v_cvt_f32_u32_e32 v0, v7
	s_delay_alu instid0(VALU_DEP_1) | instskip(SKIP_1) | instid1(TRANS32_DEP_1)
	v_rcp_iflag_f32_e32 v0, v0
	v_nop
	v_dual_mul_f32 v0, 0x4f7ffffe, v0 :: v_dual_sub_nc_u32 v1, 0, v7
	s_delay_alu instid0(VALU_DEP_1) | instskip(NEXT) | instid1(VALU_DEP_1)
	v_cvt_u32_f32_e32 v0, v0
	v_mul_lo_u32 v1, v1, v0
	s_delay_alu instid0(VALU_DEP_1) | instskip(NEXT) | instid1(VALU_DEP_1)
	v_mul_hi_u32 v1, v0, v1
	v_dual_sub_nc_u32 v8, 0, v11 :: v_dual_add_nc_u32 v0, v0, v1
	s_delay_alu instid0(VALU_DEP_1) | instskip(NEXT) | instid1(VALU_DEP_1)
	v_max_i32_e32 v8, v11, v8
	v_mul_hi_u32 v1, v8, v0
	s_delay_alu instid0(VALU_DEP_1) | instskip(NEXT) | instid1(VALU_DEP_1)
	v_mul_lo_u32 v9, v1, v7
	v_sub_nc_u32_e32 v9, v8, v9
	v_add_nc_u32_e32 v8, 1, v1
	s_delay_alu instid0(VALU_DEP_2) | instskip(NEXT) | instid1(VALU_DEP_2)
	v_cmp_ge_u32_e32 vcc_lo, v9, v7
	v_cndmask_b32_e32 v1, v1, v8, vcc_lo
	v_dual_sub_nc_u32 v14, v9, v7 :: v_dual_ashrrev_i32 v8, 31, v6
	s_delay_alu instid0(VALU_DEP_1) | instskip(NEXT) | instid1(VALU_DEP_2)
	v_dual_cndmask_b32 v9, v9, v14 :: v_dual_add_nc_u32 v14, 1, v1
	v_xor_b32_e32 v15, v15, v8
	s_delay_alu instid0(VALU_DEP_2) | instskip(SKIP_3) | instid1(VALU_DEP_1)
	v_cmp_ge_u32_e32 vcc_lo, v9, v7
	s_wait_loadcnt 0x0
	v_mul_lo_u32 v9, v2, v3
	v_cndmask_b32_e32 v1, v1, v14, vcc_lo
	v_xor_b32_e32 v1, v1, v15
	s_delay_alu instid0(VALU_DEP_1) | instskip(SKIP_1) | instid1(VALU_DEP_1)
	v_sub_nc_u32_e32 v14, v1, v15
	v_lshlrev_b32_e32 v1, 1, v11
	v_or_b32_e32 v2, 1, v1
	s_delay_alu instid0(VALU_DEP_3) | instskip(NEXT) | instid1(VALU_DEP_2)
	v_mul_lo_u32 v3, v14, v6
	v_mul_lo_u32 v2, v9, v2
	s_delay_alu instid0(VALU_DEP_2) | instskip(SKIP_1) | instid1(VALU_DEP_1)
	v_dual_sub_nc_u32 v15, v11, v3 :: v_dual_add_nc_u32 v3, -1, v6
	s_wait_xcnt 0x0
	v_cmpx_ne_u32_e64 v15, v3
	s_xor_b32 s6, exec_lo, s6
	s_cbranch_execz .LBB13_302
; %bb.301:                              ;   in Loop: Header=BB13_294 Depth=2
	scratch_load_b32 v17, off, s32 offset:36
	v_lshl_add_u32 v3, v9, 1, v2
	s_wait_loadcnt 0x0
	s_delay_alu instid0(VALU_DEP_1)
	v_cmp_ge_i32_e32 vcc_lo, v3, v17
	v_cndmask_b32_e64 v16, 0, 1, vcc_lo
.LBB13_302:                             ;   in Loop: Header=BB13_294 Depth=2
	s_wait_xcnt 0x0
	s_and_not1_saveexec_b32 s6, s6
	s_cbranch_execz .LBB13_304
; %bb.303:                              ;   in Loop: Header=BB13_294 Depth=2
	scratch_load_b32 v17, off, s32 offset:36
	v_mov_b32_e32 v16, 1
.LBB13_304:                             ;   in Loop: Header=BB13_294 Depth=2
	s_wait_xcnt 0x0
	s_or_b32 exec_lo, exec_lo, s6
	s_clause 0x2
	scratch_load_b32 v3, off, s32 offset:40
	scratch_load_b32 v19, off, s32 offset:32
	scratch_load_b64 v[28:29], off, s32 offset:16
	v_ctz_i32_b32_e32 v33, v2
	v_cmp_eq_u32_e32 vcc_lo, 0, v9
	s_wait_loadcnt 0x3
	v_sub_nc_u32_e32 v30, 0, v17
	v_mul_lo_u32 v15, v15, v13
	s_mov_b32 s9, exec_lo
	s_wait_loadcnt 0x2
	v_cndmask_b32_e32 v3, v33, v3, vcc_lo
	s_delay_alu instid0(VALU_DEP_1) | instskip(SKIP_1) | instid1(VALU_DEP_1)
	v_lshl_add_u32 v33, -1, v3, v2
	s_wait_loadcnt 0x1
	v_add3_u32 v19, v33, v17, v19
	s_delay_alu instid0(VALU_DEP_1) | instskip(NEXT) | instid1(VALU_DEP_1)
	v_dual_sub_nc_u32 v34, 0, v19 :: v_dual_max_i32 v30, v17, v30
	v_cvt_f32_u32_e32 v31, v30
	s_delay_alu instid0(VALU_DEP_2) | instskip(NEXT) | instid1(VALU_DEP_2)
	v_max_i32_e32 v34, v19, v34
	v_rcp_iflag_f32_e32 v31, v31
	v_dual_sub_nc_u32 v32, 0, v30 :: v_dual_ashrrev_i32 v19, 31, v19
	s_delay_alu instid0(TRANS32_DEP_1) | instskip(NEXT) | instid1(VALU_DEP_1)
	v_mul_f32_e32 v31, 0x4f7ffffe, v31
	v_cvt_u32_f32_e32 v31, v31
	s_delay_alu instid0(VALU_DEP_1) | instskip(NEXT) | instid1(VALU_DEP_1)
	v_mul_lo_u32 v32, v32, v31
	v_mul_hi_u32 v32, v31, v32
	s_delay_alu instid0(VALU_DEP_1) | instskip(NEXT) | instid1(VALU_DEP_1)
	v_add_nc_u32_e32 v31, v31, v32
	v_mul_hi_u32 v31, v34, v31
	s_delay_alu instid0(VALU_DEP_1) | instskip(NEXT) | instid1(VALU_DEP_1)
	v_mul_lo_u32 v31, v31, v30
	v_sub_nc_u32_e32 v31, v34, v31
	s_delay_alu instid0(VALU_DEP_1) | instskip(SKIP_1) | instid1(VALU_DEP_2)
	v_sub_nc_u32_e32 v32, v31, v30
	v_cmp_ge_u32_e32 vcc_lo, v31, v30
	v_cndmask_b32_e32 v31, v31, v32, vcc_lo
	s_delay_alu instid0(VALU_DEP_1) | instskip(SKIP_1) | instid1(VALU_DEP_2)
	v_sub_nc_u32_e32 v32, v31, v30
	v_cmp_ge_u32_e32 vcc_lo, v31, v30
	v_cndmask_b32_e32 v30, v31, v32, vcc_lo
	v_cmp_ge_i32_e32 vcc_lo, v2, v17
	v_ctz_i32_b32_e32 v2, v33
	s_delay_alu instid0(VALU_DEP_3) | instskip(NEXT) | instid1(VALU_DEP_1)
	v_xor_b32_e32 v30, v30, v19
	v_sub_nc_u32_e32 v19, v30, v19
	s_wait_loadcnt 0x0
	s_delay_alu instid0(VALU_DEP_1) | instskip(NEXT) | instid1(VALU_DEP_1)
	v_mad_nc_u64_u32 v[30:31], v28, v19, v[4:5]
	v_mad_u32 v29, v29, v19, v31
	v_ashrrev_i32_e32 v19, 31, v19
	s_delay_alu instid0(VALU_DEP_1)
	v_mad_u32 v31, v28, v19, v29
	ds_store_2addr_b32 v0, v18, v16 offset0:5 offset1:6
	ds_store_2addr_b32 v0, v15, v14 offset0:3 offset1:4
	ds_store_2addr_b64 v0, v[2:3], v[30:31] offset1:6
	s_wait_xcnt 0x0
	v_cmpx_ne_u32_e32 0, v33
	s_xor_b32 s9, exec_lo, s9
	s_cbranch_execz .LBB13_306
; %bb.305:                              ;   in Loop: Header=BB13_294 Depth=2
	v_mul_lo_u32 v1, v9, v1
	v_dual_mov_b32 v3, v18 :: v_dual_add_nc_u32 v2, 1, v2
	s_delay_alu instid0(VALU_DEP_1) | instskip(NEXT) | instid1(VALU_DEP_1)
	v_ashrrev_i32_e32 v9, v2, v1
	v_dual_mov_b32 v1, v18 :: v_dual_sub_nc_u32 v2, 0, v9
	s_delay_alu instid0(VALU_DEP_1) | instskip(NEXT) | instid1(VALU_DEP_1)
	v_max_i32_e32 v2, v9, v2
	v_mul_u64_e32 v[0:1], v[2:3], v[0:1]
	s_delay_alu instid0(VALU_DEP_1) | instskip(NEXT) | instid1(VALU_DEP_1)
	v_mul_lo_u32 v0, v1, v7
	v_sub_nc_u32_e32 v0, v2, v0
	s_delay_alu instid0(VALU_DEP_1) | instskip(SKIP_1) | instid1(VALU_DEP_1)
	v_sub_nc_u32_e32 v3, v0, v7
	v_cmp_ge_u32_e64 s6, v0, v7
	v_dual_add_nc_u32 v2, 1, v1 :: v_dual_cndmask_b32 v0, v0, v3, s6
	s_delay_alu instid0(VALU_DEP_1) | instskip(NEXT) | instid1(VALU_DEP_2)
	v_dual_cndmask_b32 v1, v1, v2, s6 :: v_dual_ashrrev_i32 v2, 31, v9
	v_cmp_ge_u32_e64 s6, v0, v7
	s_delay_alu instid0(VALU_DEP_2) | instskip(NEXT) | instid1(VALU_DEP_1)
	v_dual_add_nc_u32 v3, 1, v1 :: v_dual_bitop2_b32 v2, v2, v8 bitop3:0x14
	v_cndmask_b32_e64 v0, v1, v3, s6
	s_delay_alu instid0(VALU_DEP_1) | instskip(NEXT) | instid1(VALU_DEP_1)
	v_xor_b32_e32 v0, v0, v2
	v_sub_nc_u32_e32 v0, v0, v2
	s_delay_alu instid0(VALU_DEP_1) | instskip(NEXT) | instid1(VALU_DEP_1)
	v_mul_lo_u32 v1, v0, v6
	v_sub_nc_u32_e32 v1, v9, v1
	s_delay_alu instid0(VALU_DEP_1)
	v_mul_lo_u32 v1, v1, v13
	ds_store_2addr_b32 v0, v1, v0 offset0:2 offset1:4
.LBB13_306:                             ;   in Loop: Header=BB13_294 Depth=2
	s_and_not1_saveexec_b32 s6, s9
; %bb.307:                              ;   in Loop: Header=BB13_294 Depth=2
	ds_store_b32 v0, v81 offset:8
; %bb.308:                              ;   in Loop: Header=BB13_294 Depth=2
	s_or_b32 exec_lo, exec_lo, s6
	s_delay_alu instid0(SALU_CYCLE_1)
	s_and_b32 s21, vcc_lo, exec_lo
.LBB13_309:                             ;   in Loop: Header=BB13_294 Depth=2
	s_or_b32 exec_lo, exec_lo, s8
                                        ; implicit-def: $vgpr13
.LBB13_310:                             ;   in Loop: Header=BB13_294 Depth=2
	s_and_not1_saveexec_b32 s22, s7
	s_cbranch_execz .LBB13_324
; %bb.311:                              ;   in Loop: Header=BB13_294 Depth=2
	s_clause 0x3
	scratch_load_b128 v[0:3], off, s32 offset:32
	scratch_load_b32 v6, off, s32 offset:68
	scratch_load_b32 v9, off, s32 offset:60
	scratch_load_b64 v[28:29], off, s32 offset:16
	s_wait_loadcnt 0x3
	v_dual_sub_nc_u32 v7, 0, v1 :: v_dual_sub_nc_u32 v8, 0, v3
	s_wait_loadcnt 0x2
	v_mul_lo_u32 v17, v6, v11
	s_delay_alu instid0(VALU_DEP_2) | instskip(NEXT) | instid1(VALU_DEP_3)
	v_max_i32_e32 v30, v1, v7
	v_max_i32_e32 v16, v3, v8
	s_delay_alu instid0(VALU_DEP_2) | instskip(SKIP_1) | instid1(VALU_DEP_4)
	v_cvt_f32_u32_e32 v7, v30
	s_wait_loadcnt 0x1
	v_add_nc_u32_e32 v14, v17, v9
	s_delay_alu instid0(VALU_DEP_3) | instskip(NEXT) | instid1(VALU_DEP_3)
	v_cvt_f32_u32_e32 v8, v16
	v_rcp_iflag_f32_e32 v7, v7
	s_delay_alu instid0(VALU_DEP_2) | instskip(NEXT) | instid1(VALU_DEP_2)
	v_ctz_i32_b32_e32 v15, v14
	v_rcp_iflag_f32_e32 v8, v8
	v_cmp_eq_u32_e32 vcc_lo, 0, v14
	s_delay_alu instid0(TRANS32_DEP_2) | instskip(SKIP_2) | instid1(VALU_DEP_3)
	v_dual_mul_f32 v19, 0x4f7ffffe, v7 :: v_dual_add_nc_u32 v6, v14, v6
	v_sub_nc_u32_e32 v31, 0, v30
	v_dual_cndmask_b32 v7, v15, v2, vcc_lo :: v_dual_sub_nc_u32 v15, 0, v16
	v_cvt_u32_f32_e32 v2, v19
	s_delay_alu instid0(TRANS32_DEP_1) | instskip(SKIP_1) | instid1(VALU_DEP_4)
	v_mul_f32_e32 v8, 0x4f7ffffe, v8
	v_cmp_ge_i32_e64 s7, v6, v1
	v_lshlrev_b32_e64 v19, v7, -1
	v_cmp_ne_u32_e64 s6, 0, v7
	v_mul_lo_u32 v31, v31, v2
	v_cvt_u32_f32_e32 v8, v8
	s_delay_alu instid0(VALU_DEP_1) | instskip(SKIP_1) | instid1(VALU_DEP_4)
	v_mul_lo_u32 v32, v15, v8
	v_add_nc_u32_e32 v15, v19, v14
	v_mul_hi_u32 v31, v2, v31
	s_delay_alu instid0(VALU_DEP_2) | instskip(NEXT) | instid1(VALU_DEP_1)
	v_add3_u32 v0, v0, v1, v15
	v_dual_sub_nc_u32 v33, 0, v0 :: v_dual_sub_nc_u32 v34, 0, v11
	v_mul_hi_u32 v32, v8, v32
	s_delay_alu instid0(VALU_DEP_2) | instskip(NEXT) | instid1(VALU_DEP_3)
	v_dual_add_nc_u32 v2, v2, v31 :: v_dual_max_i32 v33, v0, v33
	v_max_i32_e32 v31, v11, v34
	s_delay_alu instid0(VALU_DEP_2) | instskip(NEXT) | instid1(VALU_DEP_1)
	v_mul_hi_u32 v2, v33, v2
	v_mul_lo_u32 v2, v2, v30
	s_delay_alu instid0(VALU_DEP_1) | instskip(NEXT) | instid1(VALU_DEP_1)
	v_dual_add_nc_u32 v8, v8, v32 :: v_dual_sub_nc_u32 v33, v33, v2
	v_mul_hi_u32 v32, v31, v8
	s_delay_alu instid0(VALU_DEP_2) | instskip(SKIP_1) | instid1(VALU_DEP_2)
	v_dual_ashrrev_i32 v2, 31, v3 :: v_dual_sub_nc_u32 v35, v33, v30
	v_cmp_ge_u32_e32 vcc_lo, v33, v30
	v_dual_cndmask_b32 v33, v33, v35 :: v_dual_add_nc_u32 v36, 1, v32
	v_mul_lo_u32 v34, v32, v16
	s_delay_alu instid0(VALU_DEP_2) | instskip(NEXT) | instid1(VALU_DEP_2)
	v_sub_nc_u32_e32 v35, v33, v30
	v_dual_sub_nc_u32 v31, v31, v34 :: v_dual_ashrrev_i32 v34, 31, v11
	s_delay_alu instid0(VALU_DEP_1) | instskip(SKIP_1) | instid1(VALU_DEP_2)
	v_dual_sub_nc_u32 v37, v31, v16 :: v_dual_bitop2_b32 v34, v34, v2 bitop3:0x14
	v_cmp_ge_u32_e32 vcc_lo, v31, v16
	v_dual_cndmask_b32 v32, v32, v36 :: v_dual_cndmask_b32 v31, v31, v37
	v_cmp_ge_u32_e32 vcc_lo, v33, v30
	v_ashrrev_i32_e32 v0, 31, v0
	s_delay_alu instid0(VALU_DEP_3) | instskip(NEXT) | instid1(VALU_DEP_4)
	v_dual_add_nc_u32 v36, 1, v32 :: v_dual_cndmask_b32 v30, v33, v35, vcc_lo
	v_cmp_ge_u32_e32 vcc_lo, v31, v16
	s_delay_alu instid0(VALU_DEP_2) | instskip(SKIP_1) | instid1(VALU_DEP_2)
	v_cndmask_b32_e32 v31, v32, v36, vcc_lo
	v_cmp_gt_i32_e32 vcc_lo, v6, v1
	v_xor_b32_e32 v31, v31, v34
	v_xor_b32_e32 v30, v30, v0
	v_cndmask_b32_e64 v35, 0, 1, vcc_lo
	v_cmp_eq_u32_e32 vcc_lo, 0, v7
	s_delay_alu instid0(VALU_DEP_3) | instskip(SKIP_1) | instid1(VALU_DEP_2)
	v_dual_sub_nc_u32 v33, v31, v34 :: v_dual_sub_nc_u32 v32, v30, v0
	v_cndmask_b32_e64 v36, 0, 1, vcc_lo
	v_mul_lo_u32 v34, v33, v3
	s_wait_loadcnt 0x0
	s_delay_alu instid0(VALU_DEP_3) | instskip(NEXT) | instid1(VALU_DEP_2)
	v_mad_nc_u64_u32 v[30:31], v28, v32, v[4:5]
	v_dual_add_nc_u32 v0, -1, v3 :: v_dual_sub_nc_u32 v34, v11, v34
	s_delay_alu instid0(VALU_DEP_2) | instskip(NEXT) | instid1(VALU_DEP_2)
	v_mad_u32 v29, v29, v32, v31
	v_cmp_ne_u32_e64 s8, v34, v0
	v_cmp_eq_u32_e64 s9, v34, v0
	s_and_b32 s8, vcc_lo, s8
	v_ashrrev_i32_e32 v6, 31, v32
	v_mul_lo_u32 v32, v34, v13
	s_or_b32 s7, s9, s7
	s_delay_alu instid0(SALU_CYCLE_1) | instskip(NEXT) | instid1(VALU_DEP_3)
	v_cndmask_b32_e64 v34, 0, 1, s7
	v_mad_u32 v31, v28, v6, v29
	v_cndmask_b32_e64 v29, v36, v35, s8
	v_ctz_i32_b32_e32 v6, v15
	v_cndmask_b32_e64 v28, v33, 0, vcc_lo
	s_mov_b32 s8, exec_lo
	s_delay_alu instid0(VALU_DEP_3)
	v_dual_mov_b32 v33, v32 :: v_dual_bitop2_b32 v29, 1, v29 bitop3:0x40
	ds_store_b64 v0, v[30:31] offset:48
	ds_store_b32 v0, v34 offset:24
	ds_store_2addr_b64 v0, v[6:7], v[32:33] offset1:1
	ds_store_b64 v0, v[28:29] offset:16
	s_wait_xcnt 0x0
	v_cmpx_ne_u32_e32 0, v15
	s_xor_b32 s8, exec_lo, s8
	s_cbranch_execz .LBB13_319
; %bb.312:                              ;   in Loop: Header=BB13_294 Depth=2
	v_sub_nc_u32_e32 v7, 0, v9
	s_mov_b32 s9, exec_lo
	s_delay_alu instid0(VALU_DEP_1)
	v_cmpx_eq_u32_e64 v19, v7
	s_cbranch_execz .LBB13_318
; %bb.313:                              ;   in Loop: Header=BB13_294 Depth=2
	v_dual_add_nc_u32 v7, 1, v6 :: v_dual_mov_b32 v9, v18
	s_delay_alu instid0(VALU_DEP_1) | instskip(NEXT) | instid1(VALU_DEP_1)
	v_dual_mov_b32 v29, v18 :: v_dual_ashrrev_i32 v7, v7, v17
	v_sub_nc_u32_e32 v17, 0, v7
	s_delay_alu instid0(VALU_DEP_1) | instskip(NEXT) | instid1(VALU_DEP_1)
	v_max_i32_e32 v28, v7, v17
	v_mul_u64_e32 v[8:9], v[28:29], v[8:9]
	s_delay_alu instid0(VALU_DEP_1) | instskip(NEXT) | instid1(VALU_DEP_1)
	v_mul_lo_u32 v8, v9, v16
	v_sub_nc_u32_e32 v8, v28, v8
	s_delay_alu instid0(VALU_DEP_1) | instskip(SKIP_1) | instid1(VALU_DEP_1)
	v_sub_nc_u32_e32 v19, v8, v16
	v_cmp_ge_u32_e64 s7, v8, v16
	v_dual_add_nc_u32 v17, 1, v9 :: v_dual_cndmask_b32 v8, v8, v19, s7
	s_delay_alu instid0(VALU_DEP_1) | instskip(NEXT) | instid1(VALU_DEP_2)
	v_dual_cndmask_b32 v9, v9, v17, s7 :: v_dual_ashrrev_i32 v17, 31, v7
	v_cmp_ge_u32_e64 s7, v8, v16
	s_delay_alu instid0(VALU_DEP_2) | instskip(NEXT) | instid1(VALU_DEP_1)
	v_dual_add_nc_u32 v19, 1, v9 :: v_dual_bitop2_b32 v2, v17, v2 bitop3:0x14
	v_cndmask_b32_e64 v8, v9, v19, s7
	s_delay_alu instid0(VALU_DEP_1) | instskip(NEXT) | instid1(VALU_DEP_1)
	v_xor_b32_e32 v8, v8, v2
	v_sub_nc_u32_e32 v2, v8, v2
	s_delay_alu instid0(VALU_DEP_1) | instskip(NEXT) | instid1(VALU_DEP_1)
	v_mul_lo_u32 v3, v2, v3
	v_sub_nc_u32_e32 v8, v7, v3
	s_delay_alu instid0(VALU_DEP_1) | instskip(SKIP_2) | instid1(SALU_CYCLE_1)
	v_mul_lo_u32 v3, v8, v13
	ds_store_b32 v0, v3 offset:8
	s_and_saveexec_b32 s7, s6
	s_xor_b32 s6, exec_lo, s7
; %bb.314:                              ;   in Loop: Header=BB13_294 Depth=2
                                        ; implicit-def: $vgpr8
                                        ; implicit-def: $vgpr0
                                        ; implicit-def: $vgpr7
                                        ; implicit-def: $vgpr6
; %bb.315:                              ;   in Loop: Header=BB13_294 Depth=2
	s_delay_alu instid0(SALU_CYCLE_1)
	s_or_saveexec_b32 s23, s6
	v_mov_b32_e32 v3, 0
	s_xor_b32 exec_lo, exec_lo, s23
; %bb.316:                              ;   in Loop: Header=BB13_294 Depth=2
	v_lshlrev_b32_e32 v2, 1, v7
	v_cmp_eq_u32_e64 s6, v8, v0
	s_delay_alu instid0(VALU_DEP_2) | instskip(NEXT) | instid1(VALU_DEP_1)
	v_add_lshl_u32 v2, v2, 3, v6
	v_cmp_ge_i32_e64 s7, v2, v1
	v_mov_b32_e32 v2, 0
	s_or_b32 s6, s6, s7
	s_delay_alu instid0(SALU_CYCLE_1)
	v_cndmask_b32_e64 v3, 0, 1, s6
; %bb.317:                              ;   in Loop: Header=BB13_294 Depth=2
	s_or_b32 exec_lo, exec_lo, s23
	ds_store_b64 v0, v[2:3] offset:16
.LBB13_318:                             ;   in Loop: Header=BB13_294 Depth=2
	s_or_b32 exec_lo, exec_lo, s9
.LBB13_319:                             ;   in Loop: Header=BB13_294 Depth=2
	s_and_not1_saveexec_b32 s6, s8
; %bb.320:                              ;   in Loop: Header=BB13_294 Depth=2
	ds_store_2addr_b32 v0, v81, v18 offset0:2 offset1:5
; %bb.321:                              ;   in Loop: Header=BB13_294 Depth=2
	s_or_b32 exec_lo, exec_lo, s6
	v_cmp_ge_i32_e64 s7, v14, v1
	v_cmp_lt_i32_e64 s6, v15, v1
	s_and_b32 s6, s7, s6
	s_delay_alu instid0(SALU_CYCLE_1) | instskip(NEXT) | instid1(SALU_CYCLE_1)
	s_and_b32 s8, vcc_lo, s6
	s_and_saveexec_b32 s6, s8
	s_cbranch_execz .LBB13_323
; %bb.322:                              ;   in Loop: Header=BB13_294 Depth=2
	s_and_not1_b32 s7, s7, exec_lo
	ds_store_2addr_b32 v0, v81, v81 offset0:1 offset1:3
	ds_store_b32 v0, v18 offset:24
.LBB13_323:                             ;   in Loop: Header=BB13_294 Depth=2
	s_or_b32 exec_lo, exec_lo, s6
	s_delay_alu instid0(SALU_CYCLE_1) | instskip(SKIP_1) | instid1(SALU_CYCLE_1)
	s_and_not1_b32 s6, s21, exec_lo
	s_and_b32 s7, s7, exec_lo
	s_or_b32 s21, s6, s7
.LBB13_324:                             ;   in Loop: Header=BB13_294 Depth=2
	s_or_b32 exec_lo, exec_lo, s22
                                        ; implicit-def: $vgpr13
.LBB13_325:                             ;   in Loop: Header=BB13_294 Depth=2
	s_and_not1_saveexec_b32 s6, s20
	s_cbranch_execz .LBB13_331
; %bb.326:                              ;   in Loop: Header=BB13_294 Depth=2
	s_mov_b32 s8, 0
	s_mov_b32 s7, exec_lo
	v_cmpx_eq_u32_e32 0, v10
	s_cbranch_execz .LBB13_330
; %bb.327:                              ;   in Loop: Header=BB13_294 Depth=2
	s_clause 0x4
	scratch_load_b64 v[0:1], off, s32 offset:32
	scratch_load_b32 v14, off, s32 offset:44
	scratch_load_b32 v2, off, s32 offset:68
	;; [unrolled: 1-line block ×3, first 2 shown]
	scratch_load_b64 v[6:7], off, s32 offset:16
	s_mov_b32 s8, exec_lo
	s_wait_loadcnt 0x3
	v_dual_sub_nc_u32 v8, 0, v1 :: v_dual_sub_nc_u32 v15, 0, v14
	s_wait_loadcnt 0x1
	v_mad_u32 v3, v2, v11, v3
	s_delay_alu instid0(VALU_DEP_2) | instskip(NEXT) | instid1(VALU_DEP_3)
	v_max_i32_e32 v8, v1, v8
	v_max_i32_e32 v15, v14, v15
	s_delay_alu instid0(VALU_DEP_2) | instskip(NEXT) | instid1(VALU_DEP_2)
	v_cvt_f32_u32_e32 v9, v8
	v_cvt_f32_u32_e32 v17, v15
	v_sub_nc_u32_e32 v28, 0, v15
	s_delay_alu instid0(VALU_DEP_3) | instskip(NEXT) | instid1(VALU_DEP_2)
	v_rcp_iflag_f32_e32 v9, v9
	v_rcp_iflag_f32_e32 v17, v17
	s_delay_alu instid0(TRANS32_DEP_2) | instskip(NEXT) | instid1(TRANS32_DEP_1)
	v_dual_mul_f32 v9, 0x4f7ffffe, v9 :: v_dual_add_nc_u32 v0, v0, v3
	v_dual_mul_f32 v17, 0x4f7ffffe, v17 :: v_dual_sub_nc_u32 v16, 0, v8
	s_delay_alu instid0(VALU_DEP_2) | instskip(NEXT) | instid1(VALU_DEP_3)
	v_sub_nc_u32_e32 v19, 0, v0
	v_cvt_u32_f32_e32 v9, v9
	s_delay_alu instid0(VALU_DEP_3) | instskip(NEXT) | instid1(VALU_DEP_2)
	v_cvt_u32_f32_e32 v17, v17
	v_mul_lo_u32 v16, v16, v9
	s_delay_alu instid0(VALU_DEP_1) | instskip(SKIP_1) | instid1(VALU_DEP_2)
	v_mul_hi_u32 v16, v9, v16
	v_dual_ashrrev_i32 v0, 31, v0 :: v_dual_max_i32 v19, v0, v19
	v_add_nc_u32_e32 v9, v9, v16
	v_mul_lo_u32 v16, v28, v17
	s_delay_alu instid0(VALU_DEP_2) | instskip(NEXT) | instid1(VALU_DEP_2)
	v_mul_hi_u32 v9, v19, v9
	v_mul_hi_u32 v16, v17, v16
	v_sub_nc_u32_e32 v28, 0, v11
	s_delay_alu instid0(VALU_DEP_3) | instskip(NEXT) | instid1(VALU_DEP_1)
	v_mul_lo_u32 v9, v9, v8
	v_dual_add_nc_u32 v16, v17, v16 :: v_dual_sub_nc_u32 v9, v19, v9
	s_delay_alu instid0(VALU_DEP_1) | instskip(SKIP_1) | instid1(VALU_DEP_2)
	v_dual_ashrrev_i32 v19, 31, v11 :: v_dual_sub_nc_u32 v17, v9, v8
	v_cmp_ge_u32_e32 vcc_lo, v9, v8
	v_dual_cndmask_b32 v9, v9, v17 :: v_dual_max_i32 v28, v11, v28
	s_delay_alu instid0(VALU_DEP_1) | instskip(NEXT) | instid1(VALU_DEP_2)
	v_mul_hi_u32 v16, v28, v16
	v_sub_nc_u32_e32 v17, v9, v8
	v_cmp_ge_u32_e32 vcc_lo, v9, v8
	s_delay_alu instid0(VALU_DEP_3) | instskip(NEXT) | instid1(VALU_DEP_1)
	v_mul_lo_u32 v16, v16, v15
	v_dual_cndmask_b32 v8, v9, v17 :: v_dual_sub_nc_u32 v9, v28, v16
	s_delay_alu instid0(VALU_DEP_1) | instskip(SKIP_1) | instid1(VALU_DEP_2)
	v_dual_sub_nc_u32 v16, v9, v15 :: v_dual_bitop2_b32 v8, v8, v0 bitop3:0x14
	v_cmp_ge_u32_e32 vcc_lo, v9, v15
	v_cndmask_b32_e32 v16, v9, v16, vcc_lo
	s_delay_alu instid0(VALU_DEP_1) | instskip(SKIP_1) | instid1(VALU_DEP_2)
	v_sub_nc_u32_e32 v17, v16, v15
	v_cmp_ge_u32_e32 vcc_lo, v16, v15
	v_cndmask_b32_e32 v15, v16, v17, vcc_lo
	v_sub_nc_u32_e32 v0, v8, v0
	s_wait_loadcnt 0x0
	s_delay_alu instid0(VALU_DEP_1) | instskip(NEXT) | instid1(VALU_DEP_1)
	v_mad_nc_u64_u32 v[8:9], v6, v0, v[4:5]
	v_mad_u32 v7, v7, v0, v9
	v_dual_ashrrev_i32 v0, 31, v0 :: v_dual_bitop2_b32 v9, v15, v19 bitop3:0x14
	s_delay_alu instid0(VALU_DEP_1) | instskip(NEXT) | instid1(VALU_DEP_2)
	v_dual_sub_nc_u32 v15, v9, v19 :: v_dual_mov_b32 v19, v18
	v_mad_u32 v9, v6, v0, v7
	s_delay_alu instid0(VALU_DEP_2)
	v_mul_lo_u32 v6, v15, v13
	v_dual_mov_b32 v0, 1 :: v_dual_add_nc_u32 v7, -1, v14
	ds_store_2addr_b64 v0, v[18:19], v[8:9] offset0:5 offset1:6
	ds_store_b64 v0, v[26:27]
	ds_store_b32 v0, v6 offset:8
	ds_store_2addr_b32 v0, v81, v18 offset0:3 offset1:4
	s_wait_xcnt 0x0
	v_cmpx_ne_u32_e64 v15, v7
; %bb.328:                              ;   in Loop: Header=BB13_294 Depth=2
	v_add_nc_u32_e32 v0, v3, v2
	s_delay_alu instid0(VALU_DEP_1)
	v_cmp_ge_i32_e32 vcc_lo, v0, v1
	v_cndmask_b32_e64 v0, 0, 1, vcc_lo
; %bb.329:                              ;   in Loop: Header=BB13_294 Depth=2
	s_or_b32 exec_lo, exec_lo, s8
	v_cmp_ge_i32_e32 vcc_lo, v3, v1
	ds_store_2addr_b32 v0, v0, v18 offset0:5 offset1:6
	s_and_b32 s8, vcc_lo, exec_lo
.LBB13_330:                             ;   in Loop: Header=BB13_294 Depth=2
	s_or_b32 exec_lo, exec_lo, s7
	s_delay_alu instid0(SALU_CYCLE_1) | instskip(SKIP_1) | instid1(SALU_CYCLE_1)
	s_and_not1_b32 s7, s21, exec_lo
	s_and_b32 s8, s8, exec_lo
	s_or_b32 s21, s7, s8
.LBB13_331:                             ;   in Loop: Header=BB13_294 Depth=2
	s_or_b32 exec_lo, exec_lo, s6
	s_delay_alu instid0(SALU_CYCLE_1)
	s_or_not1_b32 s7, s21, exec_lo
.LBB13_332:                             ;   in Loop: Header=BB13_294 Depth=2
	s_or_b32 exec_lo, exec_lo, s12
	scratch_load_b32 v0, off, s32 offset:52
	v_add_nc_u32_e32 v1, 1, v11
                                        ; implicit-def: $sgpr12
	s_mov_b32 s6, exec_lo
	s_wait_loadcnt 0x0
	v_max_i32_e32 v2, v12, v0
	scratch_store_b32 off, v1, s32 offset:64
	s_wait_xcnt 0x0
	v_cmpx_le_i32_e64 v2, v1
	s_xor_b32 s8, exec_lo, s6
	s_cbranch_execz .LBB13_389
; %bb.333:                              ;   in Loop: Header=BB13_294 Depth=2
	s_mov_b32 s6, exec_lo
                                        ; implicit-def: $vgpr2
	v_cmpx_lt_i32_e32 1, v10
	s_xor_b32 s6, exec_lo, s6
	s_cbranch_execz .LBB13_337
; %bb.334:                              ;   in Loop: Header=BB13_294 Depth=2
	v_mov_b32_e32 v2, 1
	s_mov_b32 s9, exec_lo
	v_cmpx_eq_u32_e32 2, v10
	s_cbranch_execz .LBB13_336
; %bb.335:                              ;   in Loop: Header=BB13_294 Depth=2
	scratch_load_b32 v0, off, s32 offset:72
	s_wait_loadcnt 0x0
	v_lshrrev_b32_e32 v1, 31, v0
	s_delay_alu instid0(VALU_DEP_1) | instskip(NEXT) | instid1(VALU_DEP_1)
	v_dual_add_nc_u32 v1, v0, v1 :: v_dual_add_nc_u32 v0, 1, v0
	v_ashrrev_i32_e32 v1, 1, v1
	s_delay_alu instid0(VALU_DEP_2)
	v_cmp_gt_u32_e32 vcc_lo, 3, v0
	scratch_store_b32 off, v1, s32 offset:72
	v_cndmask_b32_e64 v2, 2, 1, vcc_lo
.LBB13_336:                             ;   in Loop: Header=BB13_294 Depth=2
	s_wait_xcnt 0x0
	s_or_b32 exec_lo, exec_lo, s9
.LBB13_337:                             ;   in Loop: Header=BB13_294 Depth=2
	s_and_not1_saveexec_b32 s6, s6
	s_cbranch_execz .LBB13_341
; %bb.338:                              ;   in Loop: Header=BB13_294 Depth=2
	v_mov_b32_e32 v2, 1
	s_mov_b32 s9, exec_lo
	v_cmpx_eq_u32_e32 1, v10
	s_cbranch_execz .LBB13_340
; %bb.339:                              ;   in Loop: Header=BB13_294 Depth=2
	scratch_load_b32 v0, off, s32 offset:60
	s_wait_loadcnt 0x0
	v_and_b32_e32 v0, 0x80000001, v0
	s_delay_alu instid0(VALU_DEP_1)
	v_cmp_ne_u32_e32 vcc_lo, 1, v0
	v_cndmask_b32_e64 v2, 0, 1, vcc_lo
.LBB13_340:                             ;   in Loop: Header=BB13_294 Depth=2
	s_wait_xcnt 0x0
	s_or_b32 exec_lo, exec_lo, s9
.LBB13_341:                             ;   in Loop: Header=BB13_294 Depth=2
	s_delay_alu instid0(SALU_CYCLE_1)
	s_or_b32 exec_lo, exec_lo, s6
	v_cmp_ne_u32_e64 s9, 0, v10
	s_mov_b32 s6, -1
	v_cmp_eq_u32_e32 vcc_lo, 0, v10
	scratch_store_b32 off, v2, s32 offset:76
	s_wait_xcnt 0x0
	s_and_saveexec_b32 s12, s9
	s_cbranch_execnz .LBB13_346
; %bb.342:                              ;   in Loop: Header=BB13_294 Depth=2
	s_or_b32 exec_lo, exec_lo, s12
	s_and_saveexec_b32 s12, s6
	s_cbranch_execnz .LBB13_349
.LBB13_343:                             ;   in Loop: Header=BB13_294 Depth=2
	s_or_b32 exec_lo, exec_lo, s12
	s_mov_b32 s6, 0
	s_and_saveexec_b32 s12, vcc_lo
	s_cbranch_execnz .LBB13_360
.LBB13_344:                             ;   in Loop: Header=BB13_294 Depth=2
	s_or_b32 exec_lo, exec_lo, s12
	s_and_saveexec_b32 s12, s9
	s_delay_alu instid0(SALU_CYCLE_1)
	s_xor_b32 s9, exec_lo, s12
	s_cbranch_execnz .LBB13_361
.LBB13_345:                             ;   in Loop: Header=BB13_294 Depth=2
	s_or_b32 exec_lo, exec_lo, s9
	s_mov_b32 s12, 0
	s_and_saveexec_b32 s9, s6
	s_cbranch_execnz .LBB13_364
	s_branch .LBB13_388
.LBB13_346:                             ;   in Loop: Header=BB13_294 Depth=2
	s_mov_b32 s21, 0
	s_mov_b32 s20, exec_lo
	v_cmpx_eq_u32_e32 1, v10
	s_cbranch_execz .LBB13_348
; %bb.347:                              ;   in Loop: Header=BB13_294 Depth=2
	scratch_load_b32 v0, off, s32 offset:60
	s_wait_loadcnt 0x0
	v_and_b32_e32 v0, 1, v0
	s_delay_alu instid0(VALU_DEP_1)
	v_cmp_eq_u32_e64 s6, 0, v0
	s_and_b32 s21, s6, exec_lo
.LBB13_348:                             ;   in Loop: Header=BB13_294 Depth=2
	s_wait_xcnt 0x0
	s_or_b32 exec_lo, exec_lo, s20
	s_delay_alu instid0(SALU_CYCLE_1)
	s_or_not1_b32 s6, s21, exec_lo
	s_or_b32 exec_lo, exec_lo, s12
	s_and_saveexec_b32 s12, s6
	s_cbranch_execz .LBB13_343
.LBB13_349:                             ;   in Loop: Header=BB13_294 Depth=2
	scratch_load_b64 v[0:1], off, s32 offset:80
	s_mov_b32 s20, exec_lo
	s_wait_loadcnt 0x0
	v_cmpx_lt_i32_e32 0, v0
	s_cbranch_execz .LBB13_359
; %bb.350:                              ;   in Loop: Header=BB13_294 Depth=2
	s_mov_b32 s21, 0
	s_mov_b32 s22, s17
	;; [unrolled: 1-line block ×3, first 2 shown]
	s_branch .LBB13_354
.LBB13_351:                             ;   in Loop: Header=BB13_354 Depth=3
	s_wait_xcnt 0x0
	s_or_b32 exec_lo, exec_lo, s27
	v_add_nc_u32_e32 v1, 1, v6
	scratch_store_b32 off, v1, s22
.LBB13_352:                             ;   in Loop: Header=BB13_354 Depth=3
	s_wait_xcnt 0x0
	s_or_b32 exec_lo, exec_lo, s25
	v_mov_b32_e32 v1, v3
.LBB13_353:                             ;   in Loop: Header=BB13_354 Depth=3
	s_or_b32 exec_lo, exec_lo, s24
	s_add_co_i32 s23, s23, 1
	s_add_co_i32 s22, s22, 4
	v_cmp_eq_u32_e64 s6, s23, v0
	s_or_b32 s21, s6, s21
	s_delay_alu instid0(SALU_CYCLE_1)
	s_and_not1_b32 exec_lo, exec_lo, s21
	s_cbranch_execz .LBB13_358
.LBB13_354:                             ;   Parent Loop BB13_4 Depth=1
                                        ;     Parent Loop BB13_294 Depth=2
                                        ; =>    This Inner Loop Header: Depth=3
	scratch_load_b32 v3, off, s22 offset:-128
	s_mov_b32 s24, exec_lo
	s_wait_loadcnt 0x0
	v_add_nc_u32_e32 v3, -1, v3
	scratch_store_b32 off, v3, s22 offset:-128
	s_wait_xcnt 0x0
	v_cmpx_eq_u32_e32 0, v3
	s_cbranch_execz .LBB13_353
; %bb.355:                              ;   in Loop: Header=BB13_354 Depth=3
	s_lshl_b32 s26, 1, s23
	s_mov_b32 s25, exec_lo
	v_dual_mov_b32 v7, s26 :: v_dual_bitop2_b32 v6, s26, v1 bitop3:0x40
	v_xor_b32_e32 v3, s26, v1
	scratch_store_b32 off, v3, s32 offset:84
	scratch_store_b32 off, v7, s22 offset:-128
	s_wait_xcnt 0x0
	v_cmpx_ne_u32_e32 0, v6
	s_cbranch_execz .LBB13_352
; %bb.356:                              ;   in Loop: Header=BB13_354 Depth=3
	scratch_load_b32 v6, off, s22
	s_mov_b32 s27, exec_lo
	s_wait_loadcnt 0x0
	v_ctz_i32_b32_e32 v7, v6
	v_cmp_eq_u32_e64 s6, 0, v6
	s_delay_alu instid0(VALU_DEP_1) | instskip(NEXT) | instid1(VALU_DEP_1)
	v_cndmask_b32_e64 v7, v7, v0, s6
	v_add3_u32 v7, s26, -1, v7
	scratch_store_b32 off, v7, s22 offset:-128
	s_wait_xcnt 0x0
	v_cmpx_eq_u32_e32 0, v7
	s_cbranch_execz .LBB13_351
; %bb.357:                              ;   in Loop: Header=BB13_354 Depth=3
	v_dual_mov_b32 v7, s26 :: v_dual_mov_b32 v3, v1
	scratch_store_b32 off, v1, s32 offset:84
	scratch_store_b32 off, v7, s22 offset:-128
	s_branch .LBB13_351
.LBB13_358:                             ;   in Loop: Header=BB13_294 Depth=2
	s_or_b32 exec_lo, exec_lo, s21
.LBB13_359:                             ;   in Loop: Header=BB13_294 Depth=2
	s_delay_alu instid0(SALU_CYCLE_1)
	s_or_b32 exec_lo, exec_lo, s20
	scratch_store_b32 off, v1, s32 offset:60
	s_wait_xcnt 0x0
	s_or_b32 exec_lo, exec_lo, s12
	s_mov_b32 s6, 0
	s_and_saveexec_b32 s12, vcc_lo
	s_cbranch_execz .LBB13_344
.LBB13_360:                             ;   in Loop: Header=BB13_294 Depth=2
	s_clause 0x1
	scratch_load_b32 v0, off, s32 offset:68
	scratch_load_b32 v1, off, s32 offset:60
	s_and_not1_b32 s9, s9, exec_lo
	s_mov_b32 s6, exec_lo
	s_wait_loadcnt 0x1
	v_lshrrev_b32_e32 v3, 31, v0
	s_delay_alu instid0(VALU_DEP_1) | instskip(NEXT) | instid1(VALU_DEP_1)
	v_add_nc_u32_e32 v0, v0, v3
	v_ashrrev_i32_e32 v0, 1, v0
	s_wait_loadcnt 0x0
	s_delay_alu instid0(VALU_DEP_1) | instskip(SKIP_1) | instid1(SALU_CYCLE_1)
	v_cmp_ne_u32_e32 vcc_lo, v1, v0
	s_and_b32 s20, vcc_lo, exec_lo
	s_or_b32 s9, s9, s20
	s_wait_xcnt 0x0
	s_or_b32 exec_lo, exec_lo, s12
	s_and_saveexec_b32 s12, s9
	s_delay_alu instid0(SALU_CYCLE_1)
	s_xor_b32 s9, exec_lo, s12
	s_cbranch_execz .LBB13_345
.LBB13_361:                             ;   in Loop: Header=BB13_294 Depth=2
	scratch_load_b32 v0, off, s32 offset:56
	s_mov_b32 s12, exec_lo
	scratch_store_b32 off, v18, s32 offset:64
	s_wait_loadcnt 0x0
	scratch_store_b32 off, v0, s32 offset:48
	s_wait_xcnt 0x0
	v_cmpx_lt_u32_e32 1, v2
	s_cbranch_execz .LBB13_363
; %bb.362:                              ;   in Loop: Header=BB13_294 Depth=2
	scratch_load_b32 v1, off, s32 offset:72
	s_wait_loadcnt 0x0
	v_dual_sub_nc_u32 v7, 0, v0 :: v_dual_lshlrev_b32 v1, 1, v1
	s_delay_alu instid0(VALU_DEP_1) | instskip(NEXT) | instid1(VALU_DEP_1)
	v_sub_nc_u32_e32 v2, 0, v1
	v_max_i32_e32 v2, v1, v2
	s_delay_alu instid0(VALU_DEP_1) | instskip(SKIP_1) | instid1(VALU_DEP_2)
	v_cvt_f32_u32_e32 v3, v2
	v_sub_nc_u32_e32 v6, 0, v2
	v_rcp_iflag_f32_e32 v3, v3
	v_nop
	s_delay_alu instid0(TRANS32_DEP_1) | instskip(NEXT) | instid1(VALU_DEP_1)
	v_mul_f32_e32 v3, 0x4f7ffffe, v3
	v_cvt_u32_f32_e32 v3, v3
	s_delay_alu instid0(VALU_DEP_1) | instskip(NEXT) | instid1(VALU_DEP_1)
	v_mul_lo_u32 v6, v6, v3
	v_mul_hi_u32 v6, v3, v6
	s_delay_alu instid0(VALU_DEP_1) | instskip(NEXT) | instid1(VALU_DEP_1)
	v_dual_add_nc_u32 v3, v3, v6 :: v_dual_max_i32 v7, v0, v7
	v_mul_hi_u32 v3, v7, v3
	s_delay_alu instid0(VALU_DEP_1) | instskip(NEXT) | instid1(VALU_DEP_1)
	v_mul_lo_u32 v6, v3, v2
	v_dual_sub_nc_u32 v6, v7, v6 :: v_dual_add_nc_u32 v7, 1, v3
	s_delay_alu instid0(VALU_DEP_1) | instskip(NEXT) | instid1(VALU_DEP_2)
	v_cmp_ge_u32_e32 vcc_lo, v6, v2
	v_dual_cndmask_b32 v3, v3, v7 :: v_dual_sub_nc_u32 v8, v6, v2
	s_delay_alu instid0(VALU_DEP_1) | instskip(NEXT) | instid1(VALU_DEP_1)
	v_dual_cndmask_b32 v1, v6, v8, vcc_lo :: v_dual_bitop2_b32 v0, v0, v1 bitop3:0x14
	v_dual_add_nc_u32 v6, 1, v3 :: v_dual_ashrrev_i32 v0, 31, v0
	s_delay_alu instid0(VALU_DEP_2) | instskip(NEXT) | instid1(VALU_DEP_2)
	v_cmp_ge_u32_e32 vcc_lo, v1, v2
	v_cndmask_b32_e32 v1, v3, v6, vcc_lo
	s_delay_alu instid0(VALU_DEP_1) | instskip(NEXT) | instid1(VALU_DEP_1)
	v_xor_b32_e32 v1, v1, v0
	v_sub_nc_u32_e32 v0, v1, v0
	scratch_store_b32 off, v0, s32 offset:48
.LBB13_363:                             ;   in Loop: Header=BB13_294 Depth=2
	s_wait_xcnt 0x0
	s_or_b32 exec_lo, exec_lo, s12
	s_delay_alu instid0(SALU_CYCLE_1)
	s_and_not1_b32 s6, s6, exec_lo
	s_or_b32 exec_lo, exec_lo, s9
	s_mov_b32 s12, 0
	s_and_saveexec_b32 s9, s6
	s_cbranch_execz .LBB13_388
.LBB13_364:                             ;   in Loop: Header=BB13_294 Depth=2
	s_clause 0x1
	scratch_load_b32 v0, off, s32 offset:24
	scratch_load_b64 v[6:7], off, s32 offset:8
	s_mov_b32 s6, exec_lo
	s_wait_loadcnt 0x1
	v_ashrrev_i32_e32 v1, 31, v0
	s_delay_alu instid0(VALU_DEP_1)
	v_add_nc_u64_e32 v[4:5], v[4:5], v[0:1]
	scratch_store_b64 off, v[4:5], s32
	s_wait_loadcnt 0x0
	v_cmpx_le_u64_e64 v[6:7], v[4:5]
	s_xor_b32 s6, exec_lo, s6
; %bb.365:                              ;   in Loop: Header=BB13_294 Depth=2
	ds_store_b32 v0, v82 offset:32
                                        ; implicit-def: $vgpr6_vgpr7
                                        ; implicit-def: $vgpr4_vgpr5
                                        ; implicit-def: $vgpr0_vgpr1
; %bb.366:                              ;   in Loop: Header=BB13_294 Depth=2
	s_or_saveexec_b32 s12, s6
	s_mov_b32 s6, -1
	s_xor_b32 exec_lo, exec_lo, s12
	s_cbranch_execz .LBB13_387
; %bb.367:                              ;   in Loop: Header=BB13_294 Depth=2
	s_clause 0x1
	scratch_load_b32 v3, off, s32 offset:56
	scratch_load_b32 v2, off, s32 offset:80
	v_sub_nc_u64_e32 v[4:5], v[6:7], v[4:5]
	s_mov_b32 s20, exec_lo
	s_delay_alu instid0(VALU_DEP_1) | instskip(SKIP_2) | instid1(VALU_DEP_1)
	v_min_i64 v[6:7], v[0:1], v[4:5]
	s_wait_loadcnt 0x1
	v_dual_mov_b32 v4, 0 :: v_dual_lshrrev_b32 v0, 31, v3
	v_dual_add_nc_u32 v1, -2, v3 :: v_dual_add_nc_u32 v0, v3, v0
	s_delay_alu instid0(VALU_DEP_1) | instskip(NEXT) | instid1(VALU_DEP_2)
	v_cmp_gt_u32_e32 vcc_lo, -3, v1
	v_ashrrev_i32_e32 v0, 1, v0
	v_cndmask_b32_e64 v1, 1, 2, vcc_lo
	s_clause 0x2
	scratch_store_b32 off, v6, s32 offset:28
	scratch_store_b64 off, v[0:1], s32 offset:72
	scratch_store_b32 off, v4, s32 offset:84
	s_wait_loadcnt 0x0
	v_cmpx_lt_i32_e32 0, v2
	s_cbranch_execz .LBB13_384
; %bb.368:                              ;   in Loop: Header=BB13_294 Depth=2
	v_mov_b32_e32 v4, 0
	s_mov_b32 s22, -1
	s_mov_b32 s21, exec_lo
	v_cmpx_ne_u32_e32 1, v2
	s_cbranch_execz .LBB13_372
; %bb.369:                              ;   in Loop: Header=BB13_294 Depth=2
	v_and_b32_e32 v4, 0x7ffffffe, v2
	v_mov_b32_e32 v1, v2
	s_mov_b32 s22, 1
	s_mov_b32 s23, 0
	;; [unrolled: 1-line block ×3, first 2 shown]
	v_mov_b32_e32 v5, v4
	s_mov_b32 s25, 0
.LBB13_370:                             ;   Parent Loop BB13_4 Depth=1
                                        ;     Parent Loop BB13_294 Depth=2
                                        ; =>    This Inner Loop Header: Depth=3
	s_delay_alu instid0(VALU_DEP_1)
	v_add_nc_u32_e32 v5, -2, v5
	v_subrev_nc_u32_e32 v7, s22, v1
	v_subrev_nc_u32_e32 v6, s25, v2
	s_add_co_i32 s25, s25, 2
	s_add_co_i32 s22, s22, 2
	v_cmp_eq_u32_e64 s6, 0, v5
	s_clause 0x1
	scratch_store_b64 off, v[6:7], s24 offset:-128
	scratch_store_b64 off, v[24:25], s24
	s_wait_xcnt 0x0
	s_add_co_i32 s24, s24, 8
	s_or_b32 s23, s6, s23
	s_delay_alu instid0(SALU_CYCLE_1)
	s_and_not1_b32 exec_lo, exec_lo, s23
	s_cbranch_execnz .LBB13_370
; %bb.371:                              ;   in Loop: Header=BB13_294 Depth=2
	s_or_b32 exec_lo, exec_lo, s23
	v_cmp_ne_u32_e64 s6, v2, v4
	s_or_not1_b32 s22, s6, exec_lo
.LBB13_372:                             ;   in Loop: Header=BB13_294 Depth=2
	s_or_b32 exec_lo, exec_lo, s21
	s_and_saveexec_b32 s21, s22
	s_cbranch_execz .LBB13_375
; %bb.373:                              ;   in Loop: Header=BB13_294 Depth=2
	v_lshl_add_u32 v1, v4, 2, s17
	v_sub_nc_u32_e32 v4, v2, v4
	s_mov_b32 s22, 0
.LBB13_374:                             ;   Parent Loop BB13_4 Depth=1
                                        ;     Parent Loop BB13_294 Depth=2
                                        ; =>    This Inner Loop Header: Depth=3
	s_clause 0x1
	scratch_store_b32 v1, v4, off offset:-128
	scratch_store_b32 v1, v80, off
	s_wait_xcnt 0x0
	v_dual_add_nc_u32 v4, -1, v4 :: v_dual_add_nc_u32 v1, 4, v1
	s_delay_alu instid0(VALU_DEP_1) | instskip(SKIP_1) | instid1(SALU_CYCLE_1)
	v_cmp_eq_u32_e64 s6, 0, v4
	s_or_b32 s22, s6, s22
	s_and_not1_b32 exec_lo, exec_lo, s22
	s_cbranch_execnz .LBB13_374
.LBB13_375:                             ;   in Loop: Header=BB13_294 Depth=2
	s_or_b32 exec_lo, exec_lo, s21
	v_mov_b32_e32 v4, 0
	s_mov_b32 s21, 0
	s_mov_b32 s22, s17
	;; [unrolled: 1-line block ×3, first 2 shown]
	s_branch .LBB13_379
.LBB13_376:                             ;   in Loop: Header=BB13_379 Depth=3
	s_wait_xcnt 0x0
	s_or_b32 exec_lo, exec_lo, s27
	v_add_nc_u32_e32 v4, 1, v5
	scratch_store_b32 off, v4, s22
.LBB13_377:                             ;   in Loop: Header=BB13_379 Depth=3
	s_wait_xcnt 0x0
	s_or_b32 exec_lo, exec_lo, s25
	v_mov_b32_e32 v4, v1
.LBB13_378:                             ;   in Loop: Header=BB13_379 Depth=3
	s_or_b32 exec_lo, exec_lo, s24
	s_add_co_i32 s23, s23, 1
	s_add_co_i32 s22, s22, 4
	v_cmp_eq_u32_e64 s6, s23, v2
	s_or_b32 s21, s6, s21
	s_delay_alu instid0(SALU_CYCLE_1)
	s_and_not1_b32 exec_lo, exec_lo, s21
	s_cbranch_execz .LBB13_383
.LBB13_379:                             ;   Parent Loop BB13_4 Depth=1
                                        ;     Parent Loop BB13_294 Depth=2
                                        ; =>    This Inner Loop Header: Depth=3
	scratch_load_b32 v1, off, s22 offset:-128
	s_mov_b32 s24, exec_lo
	s_wait_loadcnt 0x0
	v_add_nc_u32_e32 v1, -1, v1
	scratch_store_b32 off, v1, s22 offset:-128
	s_wait_xcnt 0x0
	v_cmpx_eq_u32_e32 0, v1
	s_cbranch_execz .LBB13_378
; %bb.380:                              ;   in Loop: Header=BB13_379 Depth=3
	s_lshl_b32 s26, 1, s23
	s_mov_b32 s25, exec_lo
	v_dual_mov_b32 v6, s26 :: v_dual_bitop2_b32 v5, s26, v4 bitop3:0x40
	v_xor_b32_e32 v1, s26, v4
	scratch_store_b32 off, v1, s32 offset:84
	scratch_store_b32 off, v6, s22 offset:-128
	s_wait_xcnt 0x0
	v_cmpx_ne_u32_e32 0, v5
	s_cbranch_execz .LBB13_377
; %bb.381:                              ;   in Loop: Header=BB13_379 Depth=3
	scratch_load_b32 v5, off, s22
	s_mov_b32 s27, exec_lo
	s_wait_loadcnt 0x0
	v_ctz_i32_b32_e32 v6, v5
	v_cmp_eq_u32_e64 s6, 0, v5
	s_delay_alu instid0(VALU_DEP_1) | instskip(NEXT) | instid1(VALU_DEP_1)
	v_cndmask_b32_e64 v6, v6, v2, s6
	v_add3_u32 v6, s26, -1, v6
	scratch_store_b32 off, v6, s22 offset:-128
	s_wait_xcnt 0x0
	v_cmpx_eq_u32_e32 0, v6
	s_cbranch_execz .LBB13_376
; %bb.382:                              ;   in Loop: Header=BB13_379 Depth=3
	v_dual_mov_b32 v6, s26 :: v_dual_mov_b32 v1, v4
	scratch_store_b32 off, v4, s32 offset:84
	scratch_store_b32 off, v6, s22 offset:-128
	s_branch .LBB13_376
.LBB13_383:                             ;   in Loop: Header=BB13_294 Depth=2
	s_or_b32 exec_lo, exec_lo, s21
.LBB13_384:                             ;   in Loop: Header=BB13_294 Depth=2
	s_delay_alu instid0(SALU_CYCLE_1)
	s_or_b32 exec_lo, exec_lo, s20
	v_mov_b32_e32 v5, v18
	scratch_store_b64 off, v[4:5], s32 offset:60
	s_wait_xcnt 0x0
	s_and_saveexec_b32 s6, vcc_lo
	s_cbranch_execz .LBB13_386
; %bb.385:                              ;   in Loop: Header=BB13_294 Depth=2
	v_dual_ashrrev_i32 v1, 31, v0 :: v_dual_sub_nc_u32 v5, 0, v3
	s_delay_alu instid0(VALU_DEP_1) | instskip(NEXT) | instid1(VALU_DEP_2)
	v_lshl_add_u32 v0, v0, 1, v1
	v_dual_ashrrev_i32 v3, 31, v3 :: v_dual_max_i32 v5, v3, v5
	s_delay_alu instid0(VALU_DEP_2) | instskip(NEXT) | instid1(VALU_DEP_1)
	v_xor_b32_e32 v0, v0, v1
	v_cvt_f32_u32_e32 v2, v0
	v_sub_nc_u32_e32 v4, 0, v0
	s_delay_alu instid0(VALU_DEP_2) | instskip(SKIP_1) | instid1(TRANS32_DEP_1)
	v_rcp_iflag_f32_e32 v2, v2
	v_nop
	v_mul_f32_e32 v2, 0x4f7ffffe, v2
	v_xor_b32_e32 v1, v3, v1
	s_delay_alu instid0(VALU_DEP_2) | instskip(NEXT) | instid1(VALU_DEP_1)
	v_cvt_u32_f32_e32 v2, v2
	v_mul_lo_u32 v4, v4, v2
	s_delay_alu instid0(VALU_DEP_1) | instskip(NEXT) | instid1(VALU_DEP_1)
	v_mul_hi_u32 v4, v2, v4
	v_add_nc_u32_e32 v2, v2, v4
	s_delay_alu instid0(VALU_DEP_1) | instskip(NEXT) | instid1(VALU_DEP_1)
	v_mul_hi_u32 v2, v5, v2
	v_mul_lo_u32 v4, v2, v0
	s_delay_alu instid0(VALU_DEP_1) | instskip(NEXT) | instid1(VALU_DEP_1)
	v_dual_sub_nc_u32 v4, v5, v4 :: v_dual_add_nc_u32 v5, 1, v2
	v_sub_nc_u32_e32 v6, v4, v0
	v_cmp_ge_u32_e32 vcc_lo, v4, v0
	s_delay_alu instid0(VALU_DEP_2) | instskip(NEXT) | instid1(VALU_DEP_1)
	v_dual_cndmask_b32 v2, v2, v5, vcc_lo :: v_dual_cndmask_b32 v4, v4, v6, vcc_lo
	v_add_nc_u32_e32 v5, 1, v2
	s_delay_alu instid0(VALU_DEP_2) | instskip(NEXT) | instid1(VALU_DEP_2)
	v_cmp_ge_u32_e32 vcc_lo, v4, v0
	v_cndmask_b32_e32 v0, v2, v5, vcc_lo
	s_delay_alu instid0(VALU_DEP_1) | instskip(NEXT) | instid1(VALU_DEP_1)
	v_xor_b32_e32 v0, v0, v1
	v_sub_nc_u32_e32 v3, v0, v1
.LBB13_386:                             ;   in Loop: Header=BB13_294 Depth=2
	s_or_b32 exec_lo, exec_lo, s6
	s_delay_alu instid0(SALU_CYCLE_1)
	s_xor_b32 s6, exec_lo, -1
	scratch_store_b32 off, v3, s32 offset:48
.LBB13_387:                             ;   in Loop: Header=BB13_294 Depth=2
	s_wait_xcnt 0x0
	s_or_b32 exec_lo, exec_lo, s12
	s_delay_alu instid0(SALU_CYCLE_1)
	s_and_b32 s12, s6, exec_lo
.LBB13_388:                             ;   in Loop: Header=BB13_294 Depth=2
	s_or_b32 exec_lo, exec_lo, s9
                                        ; implicit-def: $vgpr10
                                        ; implicit-def: $vgpr4_vgpr5
                                        ; implicit-def: $vgpr12
                                        ; implicit-def: $vgpr0
                                        ; implicit-def: $vgpr11
.LBB13_389:                             ;   in Loop: Header=BB13_294 Depth=2
	s_and_not1_saveexec_b32 s8, s8
	s_cbranch_execz .LBB13_293
; %bb.390:                              ;   in Loop: Header=BB13_294 Depth=2
	scratch_load_b32 v1, off, s32 offset:60
	v_cmp_eq_u32_e32 vcc_lo, 0, v10
	s_wait_loadcnt 0x0
	v_cmp_eq_u32_e64 s6, 1, v1
	s_and_b32 s9, vcc_lo, s6
	s_wait_xcnt 0x0
	s_and_saveexec_b32 s6, s9
	s_cbranch_execz .LBB13_292
; %bb.391:                              ;   in Loop: Header=BB13_294 Depth=2
	s_clause 0x1
	scratch_load_b32 v2, off, s32 offset:24
	scratch_load_b64 v[6:7], off, s32 offset:8
	s_wait_loadcnt 0x1
	v_ashrrev_i32_e32 v3, 31, v2
	s_delay_alu instid0(VALU_DEP_1) | instskip(SKIP_1) | instid1(VALU_DEP_1)
	v_add_nc_u64_e32 v[2:3], v[4:5], v[2:3]
	s_wait_loadcnt 0x0
	v_cmp_ge_u64_e32 vcc_lo, v[2:3], v[6:7]
	s_wait_xcnt 0x0
	s_and_b32 exec_lo, exec_lo, vcc_lo
	s_cbranch_execz .LBB13_292
; %bb.392:                              ;   in Loop: Header=BB13_294 Depth=2
	v_sub_nc_u32_e32 v1, 0, v0
	v_dual_add_nc_u32 v3, -1, v12 :: v_dual_sub_nc_u32 v4, 1, v12
	s_delay_alu instid0(VALU_DEP_2) | instskip(NEXT) | instid1(VALU_DEP_1)
	v_max_i32_e32 v0, v0, v1
	v_cvt_f32_u32_e32 v1, v0
	s_delay_alu instid0(VALU_DEP_1) | instskip(SKIP_1) | instid1(TRANS32_DEP_1)
	v_rcp_iflag_f32_e32 v1, v1
	v_nop
	v_dual_mul_f32 v1, 0x4f7ffffe, v1 :: v_dual_sub_nc_u32 v2, 0, v0
	s_delay_alu instid0(VALU_DEP_1) | instskip(NEXT) | instid1(VALU_DEP_1)
	v_cvt_u32_f32_e32 v1, v1
	v_mul_lo_u32 v2, v2, v1
	s_delay_alu instid0(VALU_DEP_1) | instskip(NEXT) | instid1(VALU_DEP_1)
	v_mul_hi_u32 v2, v1, v2
	v_dual_add_nc_u32 v1, v1, v2 :: v_dual_max_i32 v4, v3, v4
	s_delay_alu instid0(VALU_DEP_1) | instskip(NEXT) | instid1(VALU_DEP_1)
	v_mul_hi_u32 v1, v4, v1
	v_mul_lo_u32 v1, v1, v0
	s_delay_alu instid0(VALU_DEP_1) | instskip(NEXT) | instid1(VALU_DEP_1)
	v_dual_sub_nc_u32 v1, v4, v1 :: v_dual_ashrrev_i32 v4, 31, v3
	v_sub_nc_u32_e32 v2, v1, v0
	v_cmp_ge_u32_e32 vcc_lo, v1, v0
	s_delay_alu instid0(VALU_DEP_2) | instskip(NEXT) | instid1(VALU_DEP_1)
	v_cndmask_b32_e32 v1, v1, v2, vcc_lo
	v_sub_nc_u32_e32 v2, v1, v0
	v_cmp_ge_u32_e32 vcc_lo, v1, v0
	s_delay_alu instid0(VALU_DEP_2) | instskip(NEXT) | instid1(VALU_DEP_1)
	v_cndmask_b32_e32 v0, v1, v2, vcc_lo
	v_xor_b32_e32 v0, v0, v4
	s_delay_alu instid0(VALU_DEP_1) | instskip(NEXT) | instid1(VALU_DEP_1)
	v_sub_nc_u32_e32 v0, v4, v0
	v_add_nc_u32_e32 v0, v3, v0
	s_delay_alu instid0(VALU_DEP_1)
	v_cmp_ge_i32_e32 vcc_lo, v11, v0
	s_and_b32 exec_lo, exec_lo, vcc_lo
	s_cbranch_execz .LBB13_292
; %bb.393:                              ;   in Loop: Header=BB13_294 Depth=2
	ds_store_b32 v0, v80 offset:32
	s_branch .LBB13_292
.LBB13_394:
	s_wait_loadcnt 0x0
	s_wait_kmcnt 0x0
	s_set_pc_i64 s[30:31]
.Lfunc_end13:
	.size	_Z45ncclDevFunc_AllGather_PAT_SIMPLE_Sum_i8_0_0_2v, .Lfunc_end13-_Z45ncclDevFunc_AllGather_PAT_SIMPLE_Sum_i8_0_0_2v
                                        ; -- End function
	.set .L_Z45ncclDevFunc_AllGather_PAT_SIMPLE_Sum_i8_0_0_2v.num_vgpr, 118
	.set .L_Z45ncclDevFunc_AllGather_PAT_SIMPLE_Sum_i8_0_0_2v.num_agpr, 0
	.set .L_Z45ncclDevFunc_AllGather_PAT_SIMPLE_Sum_i8_0_0_2v.numbered_sgpr, 48
	.set .L_Z45ncclDevFunc_AllGather_PAT_SIMPLE_Sum_i8_0_0_2v.num_named_barrier, 0
	.set .L_Z45ncclDevFunc_AllGather_PAT_SIMPLE_Sum_i8_0_0_2v.private_seg_size, 352
	.set .L_Z45ncclDevFunc_AllGather_PAT_SIMPLE_Sum_i8_0_0_2v.uses_vcc, 1
	.set .L_Z45ncclDevFunc_AllGather_PAT_SIMPLE_Sum_i8_0_0_2v.uses_flat_scratch, 1
	.set .L_Z45ncclDevFunc_AllGather_PAT_SIMPLE_Sum_i8_0_0_2v.has_dyn_sized_stack, 0
	.set .L_Z45ncclDevFunc_AllGather_PAT_SIMPLE_Sum_i8_0_0_2v.has_recursion, 0
	.set .L_Z45ncclDevFunc_AllGather_PAT_SIMPLE_Sum_i8_0_0_2v.has_indirect_call, 0
	.section	.AMDGPU.csdata,"",@progbits
; Function info:
; codeLenInByte = 17332
; TotalNumSgprs: 50
; NumVgprs: 118
; ScratchSize: 352
; MemoryBound: 0
	.text
	.p2align	2                               ; -- Begin function _ZN12_GLOBAL__N_17runRingIa7FuncSumIaE7ProtoLLLi0ELi4ELi0ELb0EEEviiP15ncclDevWorkColl
	.type	_ZN12_GLOBAL__N_17runRingIa7FuncSumIaE7ProtoLLLi0ELi4ELi0ELb0EEEviiP15ncclDevWorkColl,@function
_ZN12_GLOBAL__N_17runRingIa7FuncSumIaE7ProtoLLLi0ELi4ELi0ELb0EEEviiP15ncclDevWorkColl: ; @_ZN12_GLOBAL__N_17runRingIa7FuncSumIaE7ProtoLLLi0ELi4ELi0ELb0EEEviiP15ncclDevWorkColl
; %bb.0:
	s_wait_loadcnt_dscnt 0x0
	s_wait_kmcnt 0x0
	s_clause 0xf
	scratch_store_b32 off, v40, s32 offset:60
	; meta instruction
	scratch_store_b32 off, v41, s32 offset:56
	; meta instruction
	;; [unrolled: 2-line block ×15, first 2 shown]
	scratch_store_b32 off, v63, s32
	s_trap 2
	s_clause 0x2
	flat_load_b32 v14, v[2:3]
	flat_load_b128 v[4:7], v[2:3] offset:72
	flat_load_b64 v[12:13], v[2:3] offset:88
	v_mov_b32_e32 v18, v1
	ds_load_b32 v8, v0
	ds_load_b64 v[22:23], v0
	s_mov_b32 s0, exec_lo
                                        ; implicit-def: $vgpr20_vgpr21
	s_wait_dscnt 0x1
	v_readfirstlane_b32 s10, v8
	s_wait_loadcnt 0x2
	v_bfe_u32 v9, v14, 8, 8
	v_bitop3_b32 v1, v14, 0xff, v14 bitop3:0x3f
	s_delay_alu instid0(VALU_DEP_1) | instskip(NEXT) | instid1(VALU_DEP_1)
	v_add_nc_u32_e32 v10, v9, v1
	v_ashrrev_i32_e32 v11, 31, v10
	s_wait_loadcnt 0x1
	s_delay_alu instid0(VALU_DEP_1) | instskip(SKIP_2) | instid1(VALU_DEP_1)
	v_mul_u64_e32 v[16:17], v[6:7], v[10:11]
	v_and_b32_e32 v10, 0xff, v14
                                        ; implicit-def: $vgpr14_vgpr15
	s_wait_xcnt 0x0
	v_cmpx_ne_u32_e64 v8, v10
	s_xor_b32 s0, exec_lo, s0
	s_cbranch_execz .LBB14_6
; %bb.1:
	s_mov_b32 s1, exec_lo
                                        ; implicit-def: $vgpr14_vgpr15
                                        ; implicit-def: $vgpr20_vgpr21
	v_cmpx_ne_u32_e64 v8, v9
	s_xor_b32 s1, exec_lo, s1
	s_cbranch_execz .LBB14_3
; %bb.2:
	flat_load_b64 v[10:11], v[2:3] offset:96
	v_add_nc_u32_e32 v1, v8, v1
	s_delay_alu instid0(VALU_DEP_1) | instskip(NEXT) | instid1(VALU_DEP_1)
	v_mad_nc_u64_u32 v[20:21], v6, v1, v[4:5]
	v_mad_u32 v8, v7, v1, v21
	v_ashrrev_i32_e32 v1, 31, v1
	s_delay_alu instid0(VALU_DEP_1)
	v_mad_u32 v21, v6, v1, v8
	s_wait_loadcnt_dscnt 0x0
	v_lshrrev_b64 v[14:15], 21, v[10:11]
.LBB14_3:
	s_wait_xcnt 0x0
	s_and_not1_saveexec_b32 s1, s1
	s_cbranch_execz .LBB14_5
; %bb.4:
	flat_load_b32 v1, v[2:3] offset:100
	v_add_nc_u64_e32 v[20:21], v[16:17], v[4:5]
	s_wait_loadcnt 0x1
	v_mov_b64_e32 v[6:7], v[12:13]
	s_wait_loadcnt_dscnt 0x0
	v_lshrrev_b32_e32 v14, 10, v1
.LBB14_5:
	s_wait_xcnt 0x0
	s_or_b32 exec_lo, exec_lo, s1
.LBB14_6:
	s_and_not1_saveexec_b32 s0, s0
	s_cbranch_execz .LBB14_8
; %bb.7:
	flat_load_b64 v[14:15], v[2:3] offset:96
	v_mov_b64_e32 v[20:21], 0
	v_mov_b64_e32 v[6:7], v[4:5]
.LBB14_8:
	s_wait_xcnt 0x0
	s_or_b32 exec_lo, exec_lo, s0
	flat_load_b128 v[8:11], v[2:3] offset:16
	s_wait_loadcnt 0x1
	v_add_nc_u64_e32 v[4:5], v[12:13], v[4:5]
	s_mov_b32 s0, exec_lo
	s_delay_alu instid0(VALU_DEP_1)
	v_add_nc_u64_e32 v[24:25], v[4:5], v[16:17]
	s_wait_xcnt 0x0
	v_cmpx_ge_i32_e64 v0, v18
	s_xor_b32 s0, exec_lo, s0
	s_cbranch_execz .LBB14_33
; %bb.9:
	s_wait_dscnt 0x1
	flat_load_b32 v2, v[22:23]
	s_mov_b32 s1, exec_lo
	s_wait_loadcnt_dscnt 0x0
	v_ashrrev_i32_e32 v3, 31, v2
	s_delay_alu instid0(VALU_DEP_1) | instskip(NEXT) | instid1(VALU_DEP_1)
	v_mul_u64_e32 v[2:3], v[24:25], v[2:3]
	v_add_nc_u64_e32 v[4:5], v[8:9], v[2:3]
	s_wait_xcnt 0x0
	s_delay_alu instid0(VALU_DEP_1)
	v_cmpx_ne_u64_e64 v[10:11], v[4:5]
	s_cbranch_execz .LBB14_32
; %bb.10:
	v_sub_nc_u32_e32 v17, v0, v18
	v_add_nc_u64_e32 v[8:9], v[8:9], v[20:21]
	s_mov_b32 s2, 0
	s_mov_b32 s3, 0
	s_mov_b32 s4, exec_lo
	v_ashrrev_i16 v0, 15, v17
	s_delay_alu instid0(VALU_DEP_2) | instskip(NEXT) | instid1(VALU_DEP_2)
	v_add_nc_u64_e32 v[2:3], v[8:9], v[2:3]
	v_lshrrev_b16 v0, 11, v0
	s_delay_alu instid0(VALU_DEP_1) | instskip(NEXT) | instid1(VALU_DEP_1)
	v_add_nc_u16 v5, v17, v0
	v_and_b32_e32 v0, 0xffffffe0, v5
	s_delay_alu instid0(VALU_DEP_1) | instskip(SKIP_1) | instid1(VALU_DEP_2)
	v_sub_nc_u16 v4, v17, v0
	v_add_nc_u64_e32 v[0:1], v[10:11], v[20:21]
	v_cmpx_gt_i16_e32 1, v4
; %bb.11:
	s_delay_alu instid0(VALU_DEP_2) | instskip(NEXT) | instid1(VALU_DEP_1)
	v_bitop3_b32 v8, v0, 15, v2 bitop3:0xc8
	v_cmp_ne_u32_e32 vcc_lo, 0, v8
	s_and_b32 s3, vcc_lo, exec_lo
; %bb.12:
	s_or_b32 exec_lo, exec_lo, s4
	v_cndmask_b32_e64 v8, 0, 1, s3
	v_ashrrev_i16 v20, 5, v5
	s_delay_alu instid0(VALU_DEP_2)
	v_cmp_ne_u32_e32 vcc_lo, 0, v8
	s_cbranch_vccz .LBB14_14
; %bb.13:
	v_mov_b64_e32 v[10:11], 0
	s_mov_b32 s5, -1
	s_mov_b32 s3, 0
                                        ; implicit-def: $vgpr8_vgpr9
                                        ; implicit-def: $vgpr4_vgpr5
                                        ; implicit-def: $vgpr15
	s_and_saveexec_b32 s4, s5
	s_cbranch_execnz .LBB14_23
	s_branch .LBB14_26
.LBB14_14:
	v_dual_ashrrev_i32 v5, 31, v7 :: v_dual_mov_b32 v9, 0
	s_delay_alu instid0(VALU_DEP_3) | instskip(SKIP_2) | instid1(VALU_DEP_2)
	v_bfe_i32 v10, v20, 0, 16
	s_mov_b32 s5, 0
	s_mov_b32 s3, -1
	v_lshrrev_b32_e32 v8, 20, v5
                                        ; implicit-def: $vgpr17
	s_delay_alu instid0(VALU_DEP_2) | instskip(NEXT) | instid1(VALU_DEP_2)
	v_ashrrev_i32_e32 v11, 31, v10
	v_add_nc_u64_e32 v[8:9], v[6:7], v[8:9]
	s_delay_alu instid0(VALU_DEP_1) | instskip(NEXT) | instid1(VALU_DEP_1)
	v_ashrrev_i64 v[12:13], 12, v[8:9]
                                        ; implicit-def: $vgpr8_vgpr9
	v_sub_nc_u64_e32 v[14:15], v[12:13], v[10:11]
	v_mov_b64_e32 v[10:11], 0
	s_delay_alu instid0(VALU_DEP_2)
	v_cmp_gt_i64_e32 vcc_lo, 1, v[14:15]
	v_bfe_i32 v15, v4, 0, 16
                                        ; implicit-def: $vgpr4_vgpr5
	s_and_saveexec_b32 s4, vcc_lo
	s_cbranch_execz .LBB14_22
; %bb.15:
	v_lshlrev_b64_e32 v[4:5], 12, v[12:13]
	v_mov_b64_e32 v[10:11], 0
	s_mov_b32 s6, 0
	s_mov_b32 s2, exec_lo
                                        ; implicit-def: $vgpr8_vgpr9
                                        ; implicit-def: $vgpr12_vgpr13
                                        ; implicit-def: $vgpr17
	s_delay_alu instid0(VALU_DEP_2)
	v_cmpx_ne_u64_e64 v[6:7], v[4:5]
	s_cbranch_execz .LBB14_21
; %bb.16:
	v_sub_nc_u64_e32 v[18:19], v[6:7], v[4:5]
	s_mov_b32 s3, exec_lo
	s_delay_alu instid0(VALU_DEP_1) | instskip(NEXT) | instid1(VALU_DEP_1)
	v_dual_mov_b32 v9, 0 :: v_dual_ashrrev_i32 v7, 31, v19
	v_lshrrev_b32_e32 v8, 23, v7
	s_delay_alu instid0(VALU_DEP_1) | instskip(NEXT) | instid1(VALU_DEP_1)
	v_add_nc_u64_e32 v[10:11], v[18:19], v[8:9]
	v_ashrrev_i64 v[16:17], 9, v[10:11]
	v_and_b32_e32 v10, 0xfffffe00, v10
	s_delay_alu instid0(VALU_DEP_1) | instskip(SKIP_1) | instid1(VALU_DEP_2)
	v_sub_nc_u64_e32 v[12:13], v[18:19], v[10:11]
	v_add_nc_u64_e32 v[10:11], v[10:11], v[4:5]
	v_cmpx_lt_i64_e32 15, v[12:13]
; %bb.17:
	v_and_b32_e32 v8, 15, v6
	v_add_nc_u64_e32 v[16:17], 1, v[16:17]
	s_delay_alu instid0(VALU_DEP_2) | instskip(SKIP_1) | instid1(VALU_DEP_2)
	v_sub_nc_u64_e32 v[6:7], v[12:13], v[8:9]
	v_mov_b64_e32 v[12:13], v[8:9]
	v_add_nc_u64_e32 v[10:11], v[6:7], v[10:11]
; %bb.18:
	s_or_b32 exec_lo, exec_lo, s3
	v_lshlrev_b32_e32 v6, 5, v14
	s_mov_b32 s3, 0
	s_mov_b32 s5, -1
	s_mov_b32 s6, exec_lo
                                        ; implicit-def: $vgpr17
	s_delay_alu instid0(VALU_DEP_1) | instskip(NEXT) | instid1(VALU_DEP_1)
	v_sub_nc_u32_e32 v6, v15, v6
	v_ashrrev_i32_e32 v7, 31, v6
	s_delay_alu instid0(VALU_DEP_1) | instskip(NEXT) | instid1(VALU_DEP_1)
	v_lshrrev_b32_e32 v7, 27, v7
	v_add_nc_u32_e32 v7, v6, v7
	s_delay_alu instid0(VALU_DEP_1) | instskip(NEXT) | instid1(VALU_DEP_1)
	v_and_b32_e32 v8, 0xffffffe0, v7
	v_dual_ashrrev_i32 v7, 5, v7 :: v_dual_sub_nc_u32 v6, v6, v8
	s_delay_alu instid0(VALU_DEP_1) | instskip(NEXT) | instid1(VALU_DEP_1)
	v_lshlrev_b32_e32 v8, 4, v6
	v_lshl_add_u32 v8, v7, 9, v8
	s_delay_alu instid0(VALU_DEP_1) | instskip(NEXT) | instid1(VALU_DEP_1)
	v_ashrrev_i32_e32 v9, 31, v8
	v_sub_nc_u64_e32 v[18:19], v[18:19], v[8:9]
	s_delay_alu instid0(VALU_DEP_1)
	v_cmpx_gt_i64_e32 16, v[18:19]
; %bb.19:
	v_sub_nc_u32_e32 v7, v7, v16
	v_cmp_ne_u64_e32 vcc_lo, 0, v[12:13]
	s_xor_b32 s5, exec_lo, -1
	s_delay_alu instid0(VALU_DEP_2)
	v_lshl_add_u32 v17, v7, 5, v6
	s_and_b32 s3, vcc_lo, exec_lo
; %bb.20:
	s_or_b32 exec_lo, exec_lo, s6
	s_delay_alu instid0(SALU_CYCLE_1)
	s_and_b32 s6, s5, exec_lo
	s_and_b32 s5, s3, exec_lo
.LBB14_21:
	s_or_b32 exec_lo, exec_lo, s2
	v_mov_b64_e32 v[6:7], v[12:13]
	s_xor_b32 s3, exec_lo, -1
	s_and_b32 s2, s6, exec_lo
	s_and_b32 s5, s5, exec_lo
.LBB14_22:
	s_or_b32 exec_lo, exec_lo, s4
	s_and_saveexec_b32 s4, s5
	s_cbranch_execz .LBB14_26
.LBB14_23:
	v_dual_ashrrev_i32 v12, 31, v17 :: v_dual_ashrrev_i32 v13, 31, v7
	s_delay_alu instid0(VALU_DEP_1) | instskip(NEXT) | instid1(VALU_DEP_1)
	v_dual_lshrrev_b32 v14, 27, v12 :: v_dual_lshrrev_b32 v12, 22, v13
	v_dual_mov_b32 v13, 0 :: v_dual_add_nc_u32 v14, v17, v14
	s_delay_alu instid0(VALU_DEP_1) | instskip(NEXT) | instid1(VALU_DEP_2)
	v_add_nc_u64_e32 v[12:13], v[6:7], v[12:13]
	v_ashrrev_i32_e32 v6, 5, v14
	s_delay_alu instid0(VALU_DEP_2) | instskip(NEXT) | instid1(VALU_DEP_2)
	v_ashrrev_i64 v[12:13], 10, v[12:13]
	v_ashrrev_i32_e32 v7, 31, v6
	s_delay_alu instid0(VALU_DEP_1)
	v_cmp_gt_i64_e32 vcc_lo, v[12:13], v[6:7]
	s_and_b32 exec_lo, exec_lo, vcc_lo
	s_cbranch_execz .LBB14_26
; %bb.24:
	v_lshlrev_b32_e32 v7, 5, v6
	s_mov_b32 vcc_lo, exec_lo
	s_delay_alu instid0(VALU_DEP_1) | instskip(NEXT) | instid1(VALU_DEP_1)
	v_sub_nc_u32_e32 v7, v17, v7
	v_lshl_add_u32 v6, v6, 10, v7
	s_delay_alu instid0(VALU_DEP_1) | instskip(NEXT) | instid1(VALU_DEP_1)
	v_ashrrev_i32_e32 v7, 31, v6
	v_add_nc_u64_e32 v[10:11], v[10:11], v[6:7]
	s_delay_alu instid0(VALU_DEP_1)
	v_add_nc_u64_e32 v[6:7], v[10:11], v[2:3]
	v_add_nc_u64_e32 v[10:11], v[10:11], v[0:1]
.LBB14_25:                              ; =>This Inner Loop Header: Depth=1
	s_clause 0x1f
	flat_load_u8 v12, v[10:11] th:TH_LOAD_NT
	flat_load_u8 v13, v[10:11] offset:32 th:TH_LOAD_NT
	flat_load_u8 v14, v[10:11] offset:64 th:TH_LOAD_NT
	;; [unrolled: 1-line block ×31, first 2 shown]
	s_wait_loadcnt_dscnt 0x1f1f
	flat_store_b8 v[6:7], v12 th:TH_STORE_NT
	s_wait_loadcnt_dscnt 0x1e1f
	flat_store_b8 v[6:7], v13 offset:32 th:TH_STORE_NT
	s_wait_loadcnt_dscnt 0x1d1f
	flat_store_b8 v[6:7], v14 offset:64 th:TH_STORE_NT
	;; [unrolled: 2-line block ×31, first 2 shown]
	s_cbranch_vccnz .LBB14_25
.LBB14_26:
	s_wait_xcnt 0x0
	s_or_b32 exec_lo, exec_lo, s4
	s_and_saveexec_b32 s4, s2
	s_cbranch_execz .LBB14_29
; %bb.27:
	v_add_nc_u64_e32 v[6:7], v[4:5], v[8:9]
	s_mov_b32 vcc_lo, 0
	s_delay_alu instid0(VALU_DEP_1)
	v_add_nc_u64_e32 v[4:5], v[6:7], v[2:3]
	v_add_nc_u64_e32 v[6:7], v[6:7], v[0:1]
.LBB14_28:                              ; =>This Inner Loop Header: Depth=1
	global_load_b128 v[8:11], v[6:7], off th:TH_LOAD_NT
	s_wait_loadcnt 0x0
	global_store_b128 v[4:5], v[8:11], off th:TH_STORE_NT
	s_cbranch_vccz .LBB14_28
.LBB14_29:
	s_wait_xcnt 0x0
	s_or_b32 exec_lo, exec_lo, s4
	s_and_saveexec_b32 s2, s3
	s_delay_alu instid0(SALU_CYCLE_1)
	s_xor_b32 s2, exec_lo, s2
	s_cbranch_execz .LBB14_32
; %bb.30:
	v_bfe_i32 v4, v20, 0, 16
	v_lshlrev_b32_e32 v5, 4, v15
	s_mov_b32 vcc_lo, 0
	s_delay_alu instid0(VALU_DEP_1) | instskip(NEXT) | instid1(VALU_DEP_1)
	v_lshl_add_u32 v4, v4, 12, v5
	v_ashrrev_i32_e32 v5, 31, v4
	s_delay_alu instid0(VALU_DEP_1)
	v_add_nc_u64_e32 v[2:3], v[2:3], v[4:5]
	v_add_nc_u64_e32 v[0:1], v[0:1], v[4:5]
.LBB14_31:                              ; =>This Inner Loop Header: Depth=1
	s_clause 0x7
	global_load_b128 v[4:7], v[0:1], off th:TH_LOAD_NT
	global_load_b128 v[8:11], v[0:1], off offset:512 th:TH_LOAD_NT
	global_load_b128 v[12:15], v[0:1], off offset:1024 th:TH_LOAD_NT
	;; [unrolled: 1-line block ×7, first 2 shown]
	s_wait_loadcnt 0x7
	global_store_b128 v[2:3], v[4:7], off th:TH_STORE_NT
	s_wait_loadcnt 0x6
	global_store_b128 v[2:3], v[8:11], off offset:512 th:TH_STORE_NT
	s_wait_loadcnt 0x5
	global_store_b128 v[2:3], v[12:15], off offset:1024 th:TH_STORE_NT
	;; [unrolled: 2-line block ×7, first 2 shown]
	s_cbranch_vccz .LBB14_31
.LBB14_32:
	s_wait_xcnt 0x0
	s_or_b32 exec_lo, exec_lo, s1
                                        ; implicit-def: $vgpr6_vgpr7
                                        ; implicit-def: $vgpr20_vgpr21
                                        ; implicit-def: $vgpr14_vgpr15
                                        ; implicit-def: $vgpr24_vgpr25
                                        ; implicit-def: $vgpr0
                                        ; implicit-def: $vgpr18
                                        ; implicit-def: $vgpr22_vgpr23
                                        ; implicit-def: $vgpr31
                                        ; implicit-def: $vgpr10_vgpr11
                                        ; implicit-def: $vgpr2_vgpr3
.LBB14_33:
	s_and_not1_saveexec_b32 s11, s0
	s_cbranch_execz .LBB14_341
; %bb.34:
	s_load_b32 s0, s[8:9], 0x0
	s_clause 0x1
	flat_load_u16 v13, v[2:3] offset:8
	flat_load_b32 v12, v[2:3] offset:4
	s_bfe_u32 s1, ttmp6, 0x4000c
	s_and_b32 s2, ttmp6, 15
	s_add_co_i32 s1, s1, 1
	s_getreg_b32 s3, hwreg(HW_REG_IB_STS2, 6, 4)
	s_mul_i32 s1, ttmp9, s1
	v_mov_b32_e32 v1, 0
	s_add_co_i32 s2, s2, s1
	s_cmp_eq_u32 s3, 0
	s_mov_b32 s1, 0
	s_cselect_b32 s2, ttmp9, s2
	v_mov_b64_e32 v[26:27], 0
	s_wait_kmcnt 0x0
	s_cmp_lt_u32 s2, s0
	s_cselect_b32 s0, 12, 18
	s_delay_alu instid0(SALU_CYCLE_1)
	s_add_nc_u64 s[2:3], s[8:9], s[0:1]
	s_wait_dscnt 0x3
	global_load_u16 v15, v1, s[2:3]
	s_wait_xcnt 0x0
	v_ashrrev_i32_e32 v1, 31, v0
	s_trap 2
	ds_load_b32 v4, v0
	s_wait_dscnt 0x0
	v_cmp_gt_i32_e32 vcc_lo, 0, v4
	v_readfirstlane_b32 s2, v4
	s_and_b32 vcc_lo, exec_lo, vcc_lo
	s_wait_loadcnt 0x1
	v_lshrrev_b64 v[12:13], 31, v[12:13]
	s_delay_alu instid0(VALU_DEP_1) | instskip(NEXT) | instid1(VALU_DEP_1)
	v_dual_lshrrev_b32 v2, 27, v1 :: v_dual_bitop2_b32 v3, 3, v12 bitop3:0x40
	v_add_nc_u32_e32 v2, v0, v2
	s_delay_alu instid0(VALU_DEP_2) | instskip(NEXT) | instid1(VALU_DEP_2)
	v_and_b32_e32 v3, 0xffff, v3
	v_and_b32_e32 v2, 0xffffffe0, v2
	s_delay_alu instid0(VALU_DEP_1) | instskip(NEXT) | instid1(VALU_DEP_1)
	v_sub_nc_u32_e32 v2, v0, v2
	v_cmp_eq_u32_e64 s0, 0, v2
	s_cbranch_vccnz .LBB14_36
; %bb.35:
	s_trap 2
	ds_load_b64 v[12:13], v0
	s_mov_b32 s1, 1
	s_wait_dscnt 0x0
	v_readfirstlane_b32 s4, v12
	v_readfirstlane_b32 s5, v13
	flat_load_b64 v[4:5], v4, s[4:5] scale_offset
	s_wait_loadcnt_dscnt 0x0
	v_mad_nc_u64_u32 v[4:5], 0xa8, v3, v[4:5]
	s_clause 0x1
	flat_load_b64 v[32:33], v[4:5] offset:504
	flat_load_b64 v[34:35], v[4:5] offset:608
	v_add_nc_u64_e32 v[28:29], 0x1f8, v[4:5]
	s_wait_xcnt 0x0
	s_delay_alu instid0(VALU_DEP_1)
	v_dual_cndmask_b32 v5, 0, v29, s0 :: v_dual_cndmask_b32 v4, 0, v28, s0
	s_branch .LBB14_37
.LBB14_36:
	v_mov_b64_e32 v[28:29], 0
	v_mov_b64_e32 v[4:5], 0
                                        ; implicit-def: $vgpr34_vgpr35
                                        ; implicit-def: $vgpr32_vgpr33
.LBB14_37:
	s_trap 2
	ds_load_b32 v12, v0
	s_wait_dscnt 0x0
	v_cmp_gt_i32_e32 vcc_lo, 0, v12
	s_cbranch_vccnz .LBB14_39
; %bb.38:
	s_trap 2
	ds_load_b64 v[16:17], v0
	v_cmp_eq_u32_e32 vcc_lo, 0, v2
	s_wait_dscnt 0x0
	v_readfirstlane_b32 s4, v16
	v_readfirstlane_b32 s5, v17
	flat_load_b64 v[12:13], v12, s[4:5] scale_offset
	s_wait_loadcnt_dscnt 0x0
	v_mad_nc_u64_u32 v[26:27], 0xa8, v3, v[12:13]
	s_clause 0x1
	flat_load_b64 v[36:37], v[26:27]
	flat_load_b64 v[102:103], v[26:27] offset:104
	s_wait_xcnt 0x2
	v_dual_cndmask_b32 v13, 0, v27 :: v_dual_cndmask_b32 v12, 0, v26
	s_branch .LBB14_40
.LBB14_39:
	v_mov_b64_e32 v[12:13], 0
                                        ; implicit-def: $vgpr102_vgpr103
                                        ; implicit-def: $vgpr36_vgpr37
.LBB14_40:
	v_subrev_nc_u32_e32 v16, 32, v18
	v_cmp_gt_i32_e32 vcc_lo, s1, v2
	v_mov_b64_e32 v[2:3], 0
	v_mov_b64_e32 v[48:49], 0
                                        ; implicit-def: $vgpr38_vgpr39
	s_delay_alu instid0(VALU_DEP_4)
	v_cmp_ge_i32_e64 s0, v0, v16
	s_and_b32 s9, s0, vcc_lo
	s_wait_xcnt 0x0
	s_and_saveexec_b32 s0, s9
	s_cbranch_execz .LBB14_42
; %bb.41:
	s_clause 0x1
	flat_load_b64 v[48:49], v[4:5] offset:56
	flat_load_b64 v[38:39], v[4:5] offset:104
.LBB14_42:
	s_wait_xcnt 0x0
	s_or_b32 exec_lo, exec_lo, s0
	v_mov_b64_e32 v[50:51], 0
	v_cmp_gt_i32_e64 s0, s1, v0
                                        ; implicit-def: $vgpr64_vgpr65
	s_and_saveexec_b32 s1, s0
	s_cbranch_execz .LBB14_44
; %bb.43:
	flat_load_b64 v[50:51], v[12:13] offset:56
	s_wait_loadcnt_dscnt 0x0
	flat_load_b64 v[64:65], v[50:51] scope:SCOPE_SYS
	s_wait_loadcnt 0x0
	flat_load_b128 v[2:5], v[12:13] offset:96
.LBB14_44:
	s_wait_xcnt 0x0
	s_or_b32 exec_lo, exec_lo, s1
	v_mov_b64_e32 v[52:53], 0
	s_wait_loadcnt 0x0
	v_and_b32_e32 v30, 0xffff, v15
	s_mov_b32 s12, exec_lo
	v_cmpx_ne_u64_e32 0, v[6:7]
	s_cbranch_execnz .LBB14_60
; %bb.45:
	s_or_b32 exec_lo, exec_lo, s12
	s_and_saveexec_b32 s1, s9
	s_cbranch_execnz .LBB14_333
.LBB14_46:
	s_or_b32 exec_lo, exec_lo, s1
	s_and_saveexec_b32 s1, s0
	s_cbranch_execz .LBB14_48
.LBB14_47:
	s_wait_dscnt 0x0
	flat_store_b64 v[26:27], v[4:5] offset:104
.LBB14_48:
	s_wait_xcnt 0x0
	s_or_b32 exec_lo, exec_lo, s1
	s_delay_alu instid0(SALU_CYCLE_1)
	s_mov_b32 s0, exec_lo
	v_cmpx_ne_u32_e32 32, v18
	s_cbranch_execz .LBB14_340
; %bb.49:
	s_mov_b32 s1, exec_lo
	v_cmpx_ne_u32_e64 v18, v30
	s_xor_b32 s1, exec_lo, s1
	s_cbranch_execz .LBB14_338
; %bb.50:
	v_and_b32_e32 v0, 31, v31
	s_mov_b32 s2, exec_lo
	s_delay_alu instid0(VALU_DEP_1)
	v_cmpx_eq_u32_e32 0, v0
	s_cbranch_execz .LBB14_337
; %bb.51:
	s_mov_b32 s4, exec_lo
	s_mov_b32 s3, exec_lo
	v_mbcnt_lo_u32_b32 v0, s4, 0
	global_wb scope:SCOPE_DEV
	s_wait_storecnt 0x0
	s_wait_loadcnt_dscnt 0x0
	global_inv scope:SCOPE_DEV
	v_cmpx_eq_u32_e32 0, v0
	s_cbranch_execz .LBB14_53
; %bb.52:
	s_bcnt1_i32_b32 s4, s4
	s_delay_alu instid0(SALU_CYCLE_1)
	v_dual_mov_b32 v1, 0 :: v_dual_mov_b32 v0, s4
	s_wait_loadcnt 0x0
	ds_add_u64 v0, v[0:1]
	s_trap 2
.LBB14_53:
	s_or_b32 exec_lo, exec_lo, s3
	s_trap 2
	ds_load_b64 v[2:3], v0
	s_wait_dscnt 0x0
	v_dual_mov_b32 v1, 0 :: v_dual_lshrrev_b32 v0, 5, v18
	s_mov_b32 s3, exec_lo
	s_delay_alu instid0(VALU_DEP_1) | instskip(NEXT) | instid1(VALU_DEP_1)
	v_add_nc_u64_e32 v[0:1], v[52:53], v[0:1]
	v_cmpx_lt_u64_e64 v[2:3], v[0:1]
	s_cbranch_execz .LBB14_336
; %bb.54:
	s_mov_b32 s4, 0
	s_mov_b32 s7, 0
                                        ; implicit-def: $sgpr5
                                        ; implicit-def: $sgpr6
	s_branch .LBB14_56
.LBB14_55:                              ;   in Loop: Header=BB14_56 Depth=1
	s_or_b32 exec_lo, exec_lo, s9
	s_delay_alu instid0(SALU_CYCLE_1) | instskip(NEXT) | instid1(SALU_CYCLE_1)
	s_and_b32 s8, exec_lo, s10
	s_or_b32 s4, s8, s4
	s_and_not1_b32 s5, s5, exec_lo
	s_and_b32 s8, s6, exec_lo
	s_delay_alu instid0(SALU_CYCLE_1)
	s_or_b32 s5, s5, s8
	s_and_not1_b32 exec_lo, exec_lo, s4
	s_cbranch_execz .LBB14_334
.LBB14_56:                              ; =>This Inner Loop Header: Depth=1
	s_add_co_i32 s7, s7, 1
	s_delay_alu instid0(SALU_CYCLE_1) | instskip(SKIP_1) | instid1(SALU_CYCLE_1)
	s_cmp_lg_u32 s7, 0x2710
	s_cselect_b32 s8, -1, 0
	s_and_b32 vcc_lo, exec_lo, s8
	s_cbranch_vccz .LBB14_58
; %bb.57:                               ;   in Loop: Header=BB14_56 Depth=1
	s_mov_b32 s10, -1
	s_or_b32 s6, s6, exec_lo
	s_and_saveexec_b32 s9, s8
	s_cbranch_execz .LBB14_55
	s_branch .LBB14_59
.LBB14_58:                              ;   in Loop: Header=BB14_56 Depth=1
	s_trap 2
	ds_load_b64 v[2:3], v0
	s_and_not1_b32 s8, s8, exec_lo
	s_mov_b32 s7, 0
	s_wait_loadcnt_dscnt 0x0
	flat_load_b32 v2, v[2:3] scope:SCOPE_SYS
	s_wait_loadcnt_dscnt 0x0
	global_inv scope:SCOPE_SYS
	v_cmp_eq_u32_e32 vcc_lo, 0, v2
	s_and_b32 s9, vcc_lo, exec_lo
	s_delay_alu instid0(SALU_CYCLE_1)
	s_or_b32 s8, s8, s9
	s_mov_b32 s10, -1
	s_or_b32 s6, s6, exec_lo
	s_and_saveexec_b32 s9, s8
	s_cbranch_execz .LBB14_55
.LBB14_59:                              ;   in Loop: Header=BB14_56 Depth=1
	s_sleep 1
	s_trap 2
	ds_load_b64 v[2:3], v0
	s_wait_dscnt 0x0
	s_and_not1_b32 s6, s6, exec_lo
	v_cmp_ge_u64_e32 vcc_lo, v[2:3], v[0:1]
	s_or_not1_b32 s10, vcc_lo, exec_lo
	s_branch .LBB14_55
.LBB14_60:
	v_cvt_f64_u32_e32 v[12:13], 0
	v_lshlrev_b32_e32 v15, 4, v14
	s_ashr_i32 s1, s2, 31
	v_mov_b64_e32 v[70:71], 0
	s_lshr_b32 s1, s1, 29
	s_wait_dscnt 0x1
	v_cmp_ne_u64_e64 s6, 0, v[48:49]
	s_add_co_i32 s2, s2, s1
	v_cmp_ne_u64_e64 s1, 0, v[50:51]
	s_ashr_i32 s13, s2, 7
	s_wait_dscnt 0x0
	v_cmp_ne_u64_e64 s2, 0, v[2:3]
	v_cmp_ne_u32_e64 s3, 32, v18
	v_cmp_ne_u32_e64 s4, v18, v30
	v_lshlrev_b32_e32 v47, 6, v18
	v_lshl_add_u64 v[96:97], v[0:1], 4, v[36:37]
	v_mov_b32_e32 v1, 1
	s_cmp_lt_i32 s10, 3
	s_mov_b32 s14, 0
	s_cselect_b32 s15, -1, 0
	s_add_co_i32 s16, s10, -2
	v_dual_lshrrev_b32 v80, 5, v18 :: v_dual_lshlrev_b32 v84, 3, v18
	v_ldexp_f64 v[52:53], v[12:13], 32
	v_mov_b32_e32 v12, 0
	v_and_b32_e32 v54, 0x1fffff0, v15
	v_dual_lshlrev_b32 v66, 3, v0 :: v_dual_bitop2_b32 v13, 31, v31 bitop3:0x40
	s_delay_alu instid0(VALU_DEP_3) | instskip(NEXT) | instid1(VALU_DEP_3)
	v_mov_b32_e32 v55, v12
	v_cvt_f64_u32_e32 v[16:17], v54
	s_delay_alu instid0(VALU_DEP_3) | instskip(NEXT) | instid1(VALU_DEP_4)
	v_ashrrev_i32_e32 v67, 31, v66
	v_cmp_eq_u32_e64 s5, 0, v13
	v_and_b32_e32 v13, 0x1fffff, v14
	v_dual_mov_b32 v19, v12 :: v_dual_mov_b32 v81, v12
	v_not_b32_e32 v44, v66
	s_delay_alu instid0(VALU_DEP_3) | instskip(NEXT) | instid1(VALU_DEP_3)
	v_lshlrev_b32_e32 v46, 7, v13
	v_lshlrev_b64_e32 v[98:99], 4, v[18:19]
	v_dual_add_f64 v[68:69], v[52:53], v[16:17] :: v_dual_mov_b32 v19, 0
	v_add_nc_u64_e32 v[16:17], v[20:21], v[66:67]
	v_mov_b64_e32 v[52:53], 0
	s_delay_alu instid0(VALU_DEP_2) | instskip(SKIP_1) | instid1(VALU_DEP_2)
	v_add_nc_u64_e32 v[82:83], v[16:17], v[10:11]
	v_add_nc_u64_e32 v[86:87], v[8:9], v[16:17]
	v_dual_mov_b32 v85, v12 :: v_dual_lshlrev_b32 v45, 3, v82
	s_branch .LBB14_62
.LBB14_61:                              ;   in Loop: Header=BB14_62 Depth=1
	s_wait_xcnt 0x0
	s_or_b32 exec_lo, exec_lo, s7
	v_add_nc_u64_e32 v[70:71], v[70:71], v[54:55]
	v_add_nc_u64_e32 v[34:35], 1, v[34:35]
	;; [unrolled: 1-line block ×4, first 2 shown]
	v_add_nc_u32_e32 v45, v45, v46
	v_cmp_ge_u64_e32 vcc_lo, v[70:71], v[6:7]
	s_or_b32 s14, vcc_lo, s14
	s_delay_alu instid0(SALU_CYCLE_1)
	s_and_not1_b32 exec_lo, exec_lo, s14
	s_cbranch_execz .LBB14_332
.LBB14_62:                              ; =>This Loop Header: Depth=1
                                        ;     Child Loop BB14_68 Depth 2
                                        ;     Child Loop BB14_87 Depth 2
	;; [unrolled: 1-line block ×9, first 2 shown]
                                        ;       Child Loop BB14_185 Depth 3
                                        ;       Child Loop BB14_204 Depth 3
	;; [unrolled: 1-line block ×3, first 2 shown]
                                        ;         Child Loop BB14_230 Depth 4
                                        ;       Child Loop BB14_264 Depth 3
                                        ;       Child Loop BB14_221 Depth 3
                                        ;     Child Loop BB14_282 Depth 2
                                        ;       Child Loop BB14_286 Depth 3
                                        ;     Child Loop BB14_320 Depth 2
	s_wait_loadcnt 0x0
	flat_load_b32 v14, v[22:23]
	s_wait_dscnt 0x1
	v_sub_nc_u64_e32 v[16:17], v[6:7], v[70:71]
	v_add_nc_u64_e32 v[112:113], v[70:71], v[20:21]
	s_mov_b32 s7, exec_lo
	s_delay_alu instid0(VALU_DEP_2) | instskip(NEXT) | instid1(VALU_DEP_3)
	v_cvt_f64_u32_e32 v[100:101], v17
	v_cvt_f64_u32_e32 v[16:17], v16
	s_delay_alu instid0(VALU_DEP_2) | instskip(NEXT) | instid1(VALU_DEP_1)
	v_ldexp_f64 v[100:101], v[100:101], 32
	v_add_f64_e32 v[16:17], v[100:101], v[16:17]
	s_wait_loadcnt_dscnt 0x0
	v_dual_max_num_f64 v[100:101], v[68:69], v[68:69] :: v_dual_ashrrev_i32 v15, 31, v14
	s_delay_alu instid0(VALU_DEP_1) | instskip(SKIP_1) | instid1(VALU_DEP_2)
	v_min_num_f64_e32 v[16:17], v[100:101], v[16:17]
	v_add_nc_u64_e32 v[100:101], v[8:9], v[112:113]
	v_cvt_i32_f64_e32 v13, v[16:17]
	s_delay_alu instid0(VALU_DEP_4) | instskip(SKIP_1) | instid1(VALU_DEP_3)
	v_mul_u64_e32 v[16:17], v[24:25], v[14:15]
	v_add_nc_u64_e32 v[14:15], v[10:11], v[112:113]
	v_max_i32_e32 v58, 0, v13
	s_delay_alu instid0(VALU_DEP_1) | instskip(NEXT) | instid1(VALU_DEP_1)
	v_add_nc_u32_e32 v13, 7, v58
	v_ashrrev_i32_e32 v114, 31, v13
	s_delay_alu instid0(VALU_DEP_1) | instskip(SKIP_1) | instid1(VALU_DEP_2)
	v_lshrrev_b32_e32 v116, 29, v114
	v_add_nc_u64_e32 v[114:115], v[100:101], v[16:17]
	v_add_nc_u32_e32 v13, v13, v116
	s_delay_alu instid0(VALU_DEP_1) | instskip(SKIP_1) | instid1(VALU_DEP_3)
	v_ashrrev_i32_e32 v56, 3, v13
	s_wait_xcnt 0x0
	v_cmpx_ne_u64_e64 v[14:15], v[114:115]
	s_xor_b32 s8, exec_lo, s7
	s_cbranch_execz .LBB14_128
; %bb.63:                               ;   in Loop: Header=BB14_62 Depth=1
	s_and_saveexec_b32 s17, s1
	s_cbranch_execz .LBB14_79
; %bb.64:                               ;   in Loop: Header=BB14_62 Depth=1
	v_add_nc_u64_e32 v[14:15], 1, v[4:5]
	v_add_nc_u64_e32 v[114:115], 8, v[64:65]
	s_mov_b32 s18, exec_lo
	s_delay_alu instid0(VALU_DEP_1)
	v_cmpx_lt_u64_e64 v[114:115], v[14:15]
	s_cbranch_execz .LBB14_76
; %bb.65:                               ;   in Loop: Header=BB14_62 Depth=1
	s_mov_b32 s19, 0
	s_mov_b32 s23, 0
	v_cmp_eq_u32_e32 vcc_lo, 0, v19
                                        ; implicit-def: $sgpr20
                                        ; implicit-def: $sgpr21
                                        ; implicit-def: $sgpr22
	s_branch .LBB14_68
.LBB14_66:                              ;   in Loop: Header=BB14_68 Depth=2
	s_or_b32 exec_lo, exec_lo, s28
	v_mov_b32_e32 v13, 0
	s_and_not1_b32 s7, s22, exec_lo
	s_and_b32 s22, s26, exec_lo
	s_and_not1_b32 s21, s21, exec_lo
	s_and_b32 s25, s25, exec_lo
	s_or_b32 s22, s7, s22
	s_or_b32 s21, s21, s25
.LBB14_67:                              ;   in Loop: Header=BB14_68 Depth=2
	s_or_b32 exec_lo, exec_lo, s24
	s_delay_alu instid0(SALU_CYCLE_1) | instskip(NEXT) | instid1(SALU_CYCLE_1)
	s_and_b32 s7, exec_lo, s21
	s_or_b32 s19, s7, s19
	s_and_not1_b32 s7, s20, exec_lo
	s_and_b32 s20, s22, exec_lo
	s_delay_alu instid0(SALU_CYCLE_1)
	s_or_b32 s20, s7, s20
	s_and_not1_b32 exec_lo, exec_lo, s19
	s_cbranch_execz .LBB14_73
.LBB14_68:                              ;   Parent Loop BB14_62 Depth=1
                                        ; =>  This Inner Loop Header: Depth=2
	s_sleep 1
	s_wait_loadcnt_dscnt 0x0
	flat_load_b64 v[64:65], v[50:51] scope:SCOPE_DEV
	v_mov_b32_e32 v13, v19
	s_or_b32 s22, s22, exec_lo
	s_or_b32 s21, s21, exec_lo
                                        ; implicit-def: $vgpr5
	s_wait_xcnt 0x0
	s_and_saveexec_b32 s24, vcc_lo
	s_cbranch_execz .LBB14_67
; %bb.69:                               ;   in Loop: Header=BB14_68 Depth=2
	s_add_co_i32 s23, s23, 1
	s_mov_b32 s25, -1
	s_cmp_lg_u32 s23, 0x2710
	s_mov_b32 s26, -1
	s_cselect_b32 s27, -1, 0
	s_cmp_eq_u32 s23, 0x2710
                                        ; implicit-def: $vgpr5
	s_cbranch_scc1 .LBB14_71
; %bb.70:                               ;   in Loop: Header=BB14_68 Depth=2
	s_and_saveexec_b32 s28, s27
	s_cbranch_execz .LBB14_66
	s_branch .LBB14_72
.LBB14_71:                              ;   in Loop: Header=BB14_68 Depth=2
	s_trap 2
	ds_load_b64 v[114:115], v0
	s_and_not1_b32 s23, s27, exec_lo
	s_mov_b32 s26, 0
	s_wait_storecnt 0x0
	s_wait_loadcnt_dscnt 0x0
	flat_load_b32 v5, v[114:115] scope:SCOPE_SYS
	s_wait_loadcnt_dscnt 0x0
	global_inv scope:SCOPE_SYS
	v_cmp_eq_u32_e64 s7, 0, v5
	s_and_b32 s7, s7, exec_lo
	s_delay_alu instid0(SALU_CYCLE_1)
	s_or_b32 s27, s23, s7
	s_mov_b32 s23, 0
	s_and_saveexec_b32 s28, s27
	s_cbranch_execz .LBB14_66
.LBB14_72:                              ;   in Loop: Header=BB14_68 Depth=2
	s_wait_loadcnt_dscnt 0x0
	v_add_nc_u64_e32 v[114:115], 8, v[64:65]
	s_or_b32 s26, s26, exec_lo
	s_delay_alu instid0(VALU_DEP_1)
	v_cmp_ge_u64_e64 s7, v[114:115], v[14:15]
	s_or_not1_b32 s25, s7, exec_lo
	s_branch .LBB14_66
.LBB14_73:                              ;   in Loop: Header=BB14_62 Depth=1
	s_or_b32 exec_lo, exec_lo, s19
	s_xor_b32 s7, s20, -1
	s_delay_alu instid0(SALU_CYCLE_1) | instskip(NEXT) | instid1(SALU_CYCLE_1)
	s_and_saveexec_b32 s19, s7
	s_xor_b32 s7, exec_lo, s19
	s_cbranch_execz .LBB14_75
; %bb.74:                               ;   in Loop: Header=BB14_62 Depth=1
	v_mov_b32_e32 v13, 1
	s_wait_storecnt 0x0
	s_wait_loadcnt_dscnt 0x0
	ds_store_b32 v0, v5
	s_trap 2
.LBB14_75:                              ;   in Loop: Header=BB14_62 Depth=1
	s_or_b32 exec_lo, exec_lo, s7
	v_mov_b32_e32 v19, v13
.LBB14_76:                              ;   in Loop: Header=BB14_62 Depth=1
	s_or_b32 exec_lo, exec_lo, s18
	s_and_saveexec_b32 s7, s2
	s_cbranch_execz .LBB14_78
; %bb.77:                               ;   in Loop: Header=BB14_62 Depth=1
	v_and_b32_e32 v114, 0x7ffffff8, v4
	v_dual_mov_b32 v115, v12 :: v_dual_bitop2_b32 v4, 7, v4 bitop3:0x40
	s_delay_alu instid0(VALU_DEP_1) | instskip(NEXT) | instid1(VALU_DEP_2)
	v_cmp_eq_u64_e32 vcc_lo, 0x7ffffff8, v[114:115]
	v_mad_nc_u64_u32 v[4:5], v4, 24, v[2:3]
	v_cndmask_b32_e64 v13, v56, s13, vcc_lo
	s_delay_alu instid0(VALU_DEP_1) | instskip(NEXT) | instid1(VALU_DEP_1)
	v_lshlrev_b32_e32 v114, 4, v13
	v_ashrrev_i32_e32 v115, 31, v114
	flat_store_b64 v[4:5], v[114:115] offset:8 scope:SCOPE_SYS
	s_wait_storecnt 0x0
.LBB14_78:                              ;   in Loop: Header=BB14_62 Depth=1
	s_wait_xcnt 0x0
	s_or_b32 exec_lo, exec_lo, s7
	v_mov_b64_e32 v[4:5], v[14:15]
.LBB14_79:                              ;   in Loop: Header=BB14_62 Depth=1
	s_or_b32 exec_lo, exec_lo, s17
	s_and_saveexec_b32 s7, s3
	s_cbranch_execz .LBB14_98
; %bb.80:                               ;   in Loop: Header=BB14_62 Depth=1
	s_and_saveexec_b32 s17, s4
	s_delay_alu instid0(SALU_CYCLE_1)
	s_xor_b32 s17, exec_lo, s17
	s_cbranch_execz .LBB14_95
; %bb.81:                               ;   in Loop: Header=BB14_62 Depth=1
	s_and_saveexec_b32 s18, s5
	s_cbranch_execz .LBB14_94
; %bb.82:                               ;   in Loop: Header=BB14_62 Depth=1
	s_mov_b32 s20, exec_lo
	s_mov_b32 s19, exec_lo
	v_mbcnt_lo_u32_b32 v13, s20, 0
	global_wb scope:SCOPE_DEV
	s_wait_storecnt 0x0
	s_wait_loadcnt_dscnt 0x0
	global_inv scope:SCOPE_DEV
	v_cmpx_eq_u32_e32 0, v13
	s_cbranch_execz .LBB14_84
; %bb.83:                               ;   in Loop: Header=BB14_62 Depth=1
	s_bcnt1_i32_b32 s20, s20
	s_delay_alu instid0(SALU_CYCLE_1)
	v_dual_mov_b32 v15, v12 :: v_dual_mov_b32 v14, s20
	s_wait_loadcnt 0x0
	ds_add_u64 v0, v[14:15]
	s_trap 2
.LBB14_84:                              ;   in Loop: Header=BB14_62 Depth=1
	s_or_b32 exec_lo, exec_lo, s19
	s_trap 2
	ds_load_b64 v[14:15], v0
	s_wait_dscnt 0x0
	v_add_nc_u64_e32 v[52:53], v[52:53], v[80:81]
	s_mov_b32 s19, exec_lo
	s_delay_alu instid0(VALU_DEP_1)
	v_cmpx_lt_u64_e64 v[14:15], v[52:53]
	s_cbranch_execz .LBB14_93
; %bb.85:                               ;   in Loop: Header=BB14_62 Depth=1
	s_mov_b32 s20, 0
	s_mov_b32 s23, 0
                                        ; implicit-def: $sgpr21
                                        ; implicit-def: $sgpr22
	s_branch .LBB14_87
.LBB14_86:                              ;   in Loop: Header=BB14_87 Depth=2
	s_or_b32 exec_lo, exec_lo, s25
	s_delay_alu instid0(SALU_CYCLE_1) | instskip(NEXT) | instid1(SALU_CYCLE_1)
	s_and_b32 s24, exec_lo, s26
	s_or_b32 s20, s24, s20
	s_and_not1_b32 s21, s21, exec_lo
	s_and_b32 s24, s22, exec_lo
	s_delay_alu instid0(SALU_CYCLE_1)
	s_or_b32 s21, s21, s24
	s_and_not1_b32 exec_lo, exec_lo, s20
	s_cbranch_execz .LBB14_91
.LBB14_87:                              ;   Parent Loop BB14_62 Depth=1
                                        ; =>  This Inner Loop Header: Depth=2
	s_add_co_i32 s23, s23, 1
	s_delay_alu instid0(SALU_CYCLE_1) | instskip(SKIP_1) | instid1(SALU_CYCLE_1)
	s_cmp_lg_u32 s23, 0x2710
	s_cselect_b32 s24, -1, 0
	s_and_b32 vcc_lo, exec_lo, s24
	s_cbranch_vccz .LBB14_89
; %bb.88:                               ;   in Loop: Header=BB14_87 Depth=2
	s_mov_b32 s26, -1
	s_or_b32 s22, s22, exec_lo
	s_and_saveexec_b32 s25, s24
	s_cbranch_execz .LBB14_86
	s_branch .LBB14_90
.LBB14_89:                              ;   in Loop: Header=BB14_87 Depth=2
	s_trap 2
	ds_load_b64 v[14:15], v0
	s_and_not1_b32 s24, s24, exec_lo
	s_mov_b32 s23, 0
	s_wait_loadcnt_dscnt 0x0
	flat_load_b32 v13, v[14:15] scope:SCOPE_SYS
	s_wait_loadcnt_dscnt 0x0
	global_inv scope:SCOPE_SYS
	v_cmp_eq_u32_e32 vcc_lo, 0, v13
	s_and_b32 s25, vcc_lo, exec_lo
	s_delay_alu instid0(SALU_CYCLE_1)
	s_or_b32 s24, s24, s25
	s_mov_b32 s26, -1
	s_or_b32 s22, s22, exec_lo
	s_and_saveexec_b32 s25, s24
	s_cbranch_execz .LBB14_86
.LBB14_90:                              ;   in Loop: Header=BB14_87 Depth=2
	s_sleep 1
	s_trap 2
	ds_load_b64 v[14:15], v0
	s_wait_dscnt 0x0
	s_and_not1_b32 s22, s22, exec_lo
	v_cmp_ge_u64_e32 vcc_lo, v[14:15], v[52:53]
	s_or_not1_b32 s26, vcc_lo, exec_lo
	s_branch .LBB14_86
.LBB14_91:                              ;   in Loop: Header=BB14_62 Depth=1
	s_or_b32 exec_lo, exec_lo, s20
	s_and_saveexec_b32 s20, s21
	s_delay_alu instid0(SALU_CYCLE_1)
	s_xor_b32 s20, exec_lo, s20
	s_cbranch_execz .LBB14_93
; %bb.92:                               ;   in Loop: Header=BB14_62 Depth=1
	ds_store_b32 v0, v1
	s_trap 2
.LBB14_93:                              ;   in Loop: Header=BB14_62 Depth=1
	s_or_b32 exec_lo, exec_lo, s19
	;;#ASMSTART
	s_wakeup
	;;#ASMEND
.LBB14_94:                              ;   in Loop: Header=BB14_62 Depth=1
	s_or_b32 exec_lo, exec_lo, s18
.LBB14_95:                              ;   in Loop: Header=BB14_62 Depth=1
	s_and_not1_saveexec_b32 s17, s17
	s_cbranch_execz .LBB14_97
; %bb.96:                               ;   in Loop: Header=BB14_62 Depth=1
	global_wb scope:SCOPE_DEV
	s_wait_storecnt 0x0
	s_wait_loadcnt_dscnt 0x0
	global_inv scope:SCOPE_DEV
	s_barrier_signal -1
	s_barrier_wait -1
.LBB14_97:                              ;   in Loop: Header=BB14_62 Depth=1
	s_or_b32 exec_lo, exec_lo, s17
.LBB14_98:                              ;   in Loop: Header=BB14_62 Depth=1
	s_delay_alu instid0(SALU_CYCLE_1) | instskip(SKIP_2) | instid1(VALU_DEP_1)
	s_or_b32 exec_lo, exec_lo, s7
	v_dual_mov_b32 v114, v0 :: v_dual_sub_nc_u32 v13, v58, v66
	s_mov_b32 s17, exec_lo
	v_cmpx_lt_i32_e32 0, v13
	s_cbranch_execz .LBB14_124
; %bb.99:                               ;   in Loop: Header=BB14_62 Depth=1
	v_dual_add_nc_u32 v15, 1, v102 :: v_dual_bitop2_b32 v14, 7, v102 bitop3:0x40
	v_add_nc_u64_e32 v[116:117], v[86:87], v[16:17]
	v_mov_b64_e32 v[118:119], 0
	v_dual_mov_b32 v57, v45 :: v_dual_mov_b32 v114, v0
	s_delay_alu instid0(VALU_DEP_4) | instskip(SKIP_1) | instid1(VALU_DEP_1)
	v_mul_lo_u32 v40, v14, s13
	s_mov_b32 s18, 0
	v_dual_add_nc_u32 v115, v44, v58 :: v_dual_ashrrev_i32 v41, 31, v40
	s_delay_alu instid0(VALU_DEP_1)
	v_lshl_add_u64 v[40:41], v[40:41], 4, v[96:97]
	s_branch .LBB14_101
.LBB14_100:                             ;   in Loop: Header=BB14_101 Depth=2
	v_dual_sub_nc_u32 v13, v13, v84 :: v_dual_add_nc_u32 v114, v114, v18
	v_add_nc_u64_e32 v[118:119], v[118:119], v[84:85]
	s_wait_xcnt 0x0
	v_add_nc_u64_e32 v[40:41], v[40:41], v[98:99]
	v_add_nc_u32_e32 v57, v57, v47
	v_cmp_gt_i32_e32 vcc_lo, 1, v13
	s_or_b32 s18, vcc_lo, s18
	s_delay_alu instid0(SALU_CYCLE_1)
	s_and_not1_b32 exec_lo, exec_lo, s18
	s_cbranch_execz .LBB14_123
.LBB14_101:                             ;   Parent Loop BB14_62 Depth=1
                                        ; =>  This Inner Loop Header: Depth=2
	v_add_nc_u64_e32 v[42:43], v[82:83], v[118:119]
	s_mov_b32 s7, exec_lo
	v_dual_mov_b32 v59, 0 :: v_dual_mov_b32 v60, 0
	s_delay_alu instid0(VALU_DEP_2)
	v_dual_mov_b32 v17, v43 :: v_dual_bitop2_b32 v16, -4, v42 bitop3:0x40
	v_min_u32_e32 v43, 8, v13
	v_and_b32_e32 v42, 3, v42
	global_load_b32 v14, v[16:17], off th:TH_LOAD_NT
	v_add_nc_u32_e32 v42, v42, v43
	s_wait_xcnt 0x0
	s_delay_alu instid0(VALU_DEP_1)
	v_cmpx_lt_u32_e32 4, v42
	s_cbranch_execz .LBB14_103
; %bb.102:                              ;   in Loop: Header=BB14_101 Depth=2
	global_load_b32 v60, v[16:17], off offset:4 th:TH_LOAD_NT
.LBB14_103:                             ;   in Loop: Header=BB14_101 Depth=2
	s_wait_xcnt 0x0
	s_or_b32 exec_lo, exec_lo, s7
	v_mov_b32_e32 v43, v12
	s_mov_b32 s7, exec_lo
	s_delay_alu instid0(VALU_DEP_1)
	v_cmpx_lt_u64_e32 8, v[42:43]
	s_cbranch_execz .LBB14_105
; %bb.104:                              ;   in Loop: Header=BB14_101 Depth=2
	global_load_b32 v59, v[16:17], off offset:8 th:TH_LOAD_NT
.LBB14_105:                             ;   in Loop: Header=BB14_101 Depth=2
	s_wait_xcnt 0x0
	s_or_b32 exec_lo, exec_lo, s7
	v_add_nc_u64_e32 v[42:43], v[116:117], v[118:119]
	v_cmp_lt_u32_e32 vcc_lo, 7, v13
	s_wait_loadcnt 0x0
	v_alignbit_b32 v14, v60, v14, v57
	v_alignbit_b32 v16, v59, v60, v57
	v_mov_b32_e32 v17, v15
	s_mov_b32 s7, -1
	s_cmp_lg_u32 vcc_lo, exec_lo
	global_store_b128 v[40:41], v[14:17], off
	s_cbranch_scc0 .LBB14_121
; %bb.106:                              ;   in Loop: Header=BB14_101 Depth=2
	s_mov_b32 s19, exec_lo
	flat_store_b8 v[42:43], v14
	s_wait_xcnt 0x0
	v_cmpx_ne_u32_e64 v115, v118
	s_cbranch_execz .LBB14_108
; %bb.107:                              ;   in Loop: Header=BB14_101 Depth=2
	v_lshrrev_b32_e32 v17, 8, v14
	flat_store_b8 v[42:43], v17 offset:1
.LBB14_108:                             ;   in Loop: Header=BB14_101 Depth=2
	s_wait_xcnt 0x0
	s_or_b32 exec_lo, exec_lo, s19
	s_delay_alu instid0(SALU_CYCLE_1)
	s_mov_b32 s19, exec_lo
	v_cmpx_lt_u32_e32 2, v13
	s_cbranch_execz .LBB14_110
; %bb.109:                              ;   in Loop: Header=BB14_101 Depth=2
	flat_store_d16_hi_b8 v[42:43], v14 offset:2
.LBB14_110:                             ;   in Loop: Header=BB14_101 Depth=2
	s_wait_xcnt 0x0
	s_or_b32 exec_lo, exec_lo, s19
	s_delay_alu instid0(SALU_CYCLE_1)
	s_mov_b32 s19, exec_lo
	v_cmpx_lt_u32_e32 3, v13
	s_cbranch_execz .LBB14_112
; %bb.111:                              ;   in Loop: Header=BB14_101 Depth=2
	v_lshrrev_b32_e32 v17, 24, v14
	flat_store_b8 v[42:43], v17 offset:3
.LBB14_112:                             ;   in Loop: Header=BB14_101 Depth=2
	s_wait_xcnt 0x0
	s_or_b32 exec_lo, exec_lo, s19
	s_delay_alu instid0(SALU_CYCLE_1)
	s_mov_b32 s19, exec_lo
	v_cmpx_lt_u32_e32 4, v13
	s_cbranch_execz .LBB14_114
; %bb.113:                              ;   in Loop: Header=BB14_101 Depth=2
	flat_store_b8 v[42:43], v16 offset:4
.LBB14_114:                             ;   in Loop: Header=BB14_101 Depth=2
	s_wait_xcnt 0x0
	s_or_b32 exec_lo, exec_lo, s19
	s_delay_alu instid0(SALU_CYCLE_1)
	s_mov_b32 s19, exec_lo
	v_cmpx_lt_u32_e32 5, v13
	s_cbranch_execz .LBB14_116
; %bb.115:                              ;   in Loop: Header=BB14_101 Depth=2
	v_lshrrev_b32_e32 v17, 8, v16
	flat_store_b8 v[42:43], v17 offset:5
.LBB14_116:                             ;   in Loop: Header=BB14_101 Depth=2
	s_wait_xcnt 0x0
	s_or_b32 exec_lo, exec_lo, s19
	s_delay_alu instid0(SALU_CYCLE_1)
	s_mov_b32 s19, exec_lo
	v_cmpx_lt_u32_e32 6, v13
	s_cbranch_execz .LBB14_118
; %bb.117:                              ;   in Loop: Header=BB14_101 Depth=2
	flat_store_d16_hi_b8 v[42:43], v16 offset:6
.LBB14_118:                             ;   in Loop: Header=BB14_101 Depth=2
	s_wait_xcnt 0x0
	s_or_b32 exec_lo, exec_lo, s19
	s_and_saveexec_b32 s7, vcc_lo
	s_cbranch_execz .LBB14_120
; %bb.119:                              ;   in Loop: Header=BB14_101 Depth=2
	v_lshrrev_b32_e32 v17, 24, v16
	flat_store_b8 v[42:43], v17 offset:7
.LBB14_120:                             ;   in Loop: Header=BB14_101 Depth=2
	s_wait_xcnt 0x0
	s_or_b32 exec_lo, exec_lo, s7
	s_mov_b32 s7, 0
.LBB14_121:                             ;   in Loop: Header=BB14_101 Depth=2
	s_delay_alu instid0(SALU_CYCLE_1)
	s_and_b32 vcc_lo, exec_lo, s7
	s_cbranch_vccz .LBB14_100
; %bb.122:                              ;   in Loop: Header=BB14_101 Depth=2
	v_dual_mov_b32 v60, v14 :: v_dual_mov_b32 v61, v16
	global_store_b64 v[42:43], v[60:61], off
	s_branch .LBB14_100
.LBB14_123:                             ;   in Loop: Header=BB14_62 Depth=1
	s_or_b32 exec_lo, exec_lo, s18
.LBB14_124:                             ;   in Loop: Header=BB14_62 Depth=1
	s_delay_alu instid0(SALU_CYCLE_1) | instskip(SKIP_3) | instid1(VALU_DEP_2)
	s_or_b32 exec_lo, exec_lo, s17
	v_and_b32_e32 v14, 0x7ffffff8, v102
	v_mov_b32_e32 v15, v12
	v_cmp_gt_i32_e64 s7, s13, v114
	v_cmp_eq_u64_e32 vcc_lo, 0x7ffffff8, v[14:15]
	s_and_b32 s17, vcc_lo, s7
	s_delay_alu instid0(SALU_CYCLE_1)
	s_and_saveexec_b32 s7, s17
	s_cbranch_execz .LBB14_127
; %bb.125:                              ;   in Loop: Header=BB14_62 Depth=1
	v_and_b32_e32 v13, 7, v102
	v_ashrrev_i32_e32 v115, 31, v114
	s_mov_b32 s17, 0
	s_delay_alu instid0(VALU_DEP_2) | instskip(SKIP_1) | instid1(VALU_DEP_2)
	v_mul_lo_u32 v14, v13, s13
	v_add_nc_u32_e32 v13, 1, v102
	v_ashrrev_i32_e32 v15, 31, v14
	s_delay_alu instid0(VALU_DEP_1) | instskip(NEXT) | instid1(VALU_DEP_1)
	v_lshlrev_b64_e32 v[14:15], 4, v[14:15]
	v_lshl_add_u64 v[14:15], v[114:115], 4, v[14:15]
	s_delay_alu instid0(VALU_DEP_1)
	v_add_nc_u64_e32 v[16:17], v[36:37], v[14:15]
.LBB14_126:                             ;   Parent Loop BB14_62 Depth=1
                                        ; =>  This Inner Loop Header: Depth=2
	v_dual_mov_b32 v14, v12 :: v_dual_add_nc_u32 v114, v114, v18
	v_mov_b32_e32 v15, v13
	s_delay_alu instid0(VALU_DEP_2) | instskip(SKIP_4) | instid1(SALU_CYCLE_1)
	v_cmp_le_i32_e32 vcc_lo, s13, v114
	global_store_b128 v[16:17], v[12:15], off
	s_wait_xcnt 0x0
	v_add_nc_u64_e32 v[16:17], v[16:17], v[98:99]
	s_or_b32 s17, vcc_lo, s17
	s_and_not1_b32 exec_lo, exec_lo, s17
	s_cbranch_execnz .LBB14_126
.LBB14_127:                             ;   in Loop: Header=BB14_62 Depth=1
	s_or_b32 exec_lo, exec_lo, s7
.LBB14_128:                             ;   in Loop: Header=BB14_62 Depth=1
	s_and_not1_saveexec_b32 s8, s8
	s_cbranch_execz .LBB14_176
; %bb.129:                              ;   in Loop: Header=BB14_62 Depth=1
	s_and_saveexec_b32 s17, s1
	s_cbranch_execz .LBB14_145
; %bb.130:                              ;   in Loop: Header=BB14_62 Depth=1
	v_add_nc_u64_e32 v[14:15], 1, v[4:5]
	s_wait_loadcnt_dscnt 0x0
	v_add_nc_u64_e32 v[16:17], 8, v[64:65]
	s_mov_b32 s18, exec_lo
	s_delay_alu instid0(VALU_DEP_1)
	v_cmpx_lt_u64_e64 v[16:17], v[14:15]
	s_cbranch_execz .LBB14_142
; %bb.131:                              ;   in Loop: Header=BB14_62 Depth=1
	s_mov_b32 s19, 0
	s_mov_b32 s23, 0
	v_cmp_eq_u32_e32 vcc_lo, 0, v19
                                        ; implicit-def: $sgpr20
                                        ; implicit-def: $sgpr21
                                        ; implicit-def: $sgpr22
	s_branch .LBB14_134
.LBB14_132:                             ;   in Loop: Header=BB14_134 Depth=2
	s_or_b32 exec_lo, exec_lo, s28
	v_mov_b32_e32 v13, 0
	s_and_not1_b32 s7, s22, exec_lo
	s_and_b32 s22, s26, exec_lo
	s_and_not1_b32 s21, s21, exec_lo
	s_and_b32 s25, s25, exec_lo
	s_or_b32 s22, s7, s22
	s_or_b32 s21, s21, s25
.LBB14_133:                             ;   in Loop: Header=BB14_134 Depth=2
	s_or_b32 exec_lo, exec_lo, s24
	s_delay_alu instid0(SALU_CYCLE_1) | instskip(NEXT) | instid1(SALU_CYCLE_1)
	s_and_b32 s7, exec_lo, s21
	s_or_b32 s19, s7, s19
	s_and_not1_b32 s7, s20, exec_lo
	s_and_b32 s20, s22, exec_lo
	s_delay_alu instid0(SALU_CYCLE_1)
	s_or_b32 s20, s7, s20
	s_and_not1_b32 exec_lo, exec_lo, s19
	s_cbranch_execz .LBB14_139
.LBB14_134:                             ;   Parent Loop BB14_62 Depth=1
                                        ; =>  This Inner Loop Header: Depth=2
	s_sleep 1
	s_wait_loadcnt_dscnt 0x0
	flat_load_b64 v[64:65], v[50:51] scope:SCOPE_DEV
	v_mov_b32_e32 v13, v19
	s_or_b32 s22, s22, exec_lo
	s_or_b32 s21, s21, exec_lo
                                        ; implicit-def: $vgpr5
	s_wait_xcnt 0x0
	s_and_saveexec_b32 s24, vcc_lo
	s_cbranch_execz .LBB14_133
; %bb.135:                              ;   in Loop: Header=BB14_134 Depth=2
	s_add_co_i32 s23, s23, 1
	s_mov_b32 s25, -1
	s_cmp_lg_u32 s23, 0x2710
	s_mov_b32 s26, -1
	s_cselect_b32 s27, -1, 0
	s_cmp_eq_u32 s23, 0x2710
                                        ; implicit-def: $vgpr5
	s_cbranch_scc1 .LBB14_137
; %bb.136:                              ;   in Loop: Header=BB14_134 Depth=2
	s_and_saveexec_b32 s28, s27
	s_cbranch_execz .LBB14_132
	s_branch .LBB14_138
.LBB14_137:                             ;   in Loop: Header=BB14_134 Depth=2
	s_trap 2
	ds_load_b64 v[16:17], v0
	s_and_not1_b32 s23, s27, exec_lo
	s_mov_b32 s26, 0
	s_wait_storecnt 0x0
	s_wait_loadcnt_dscnt 0x0
	flat_load_b32 v5, v[16:17] scope:SCOPE_SYS
	s_wait_loadcnt_dscnt 0x0
	global_inv scope:SCOPE_SYS
	v_cmp_eq_u32_e64 s7, 0, v5
	s_and_b32 s7, s7, exec_lo
	s_delay_alu instid0(SALU_CYCLE_1)
	s_or_b32 s27, s23, s7
	s_mov_b32 s23, 0
	s_and_saveexec_b32 s28, s27
	s_cbranch_execz .LBB14_132
.LBB14_138:                             ;   in Loop: Header=BB14_134 Depth=2
	s_wait_loadcnt_dscnt 0x0
	v_add_nc_u64_e32 v[16:17], 8, v[64:65]
	s_or_b32 s26, s26, exec_lo
	s_delay_alu instid0(VALU_DEP_1)
	v_cmp_ge_u64_e64 s7, v[16:17], v[14:15]
	s_or_not1_b32 s25, s7, exec_lo
	s_branch .LBB14_132
.LBB14_139:                             ;   in Loop: Header=BB14_62 Depth=1
	s_or_b32 exec_lo, exec_lo, s19
	s_xor_b32 s7, s20, -1
	s_delay_alu instid0(SALU_CYCLE_1) | instskip(NEXT) | instid1(SALU_CYCLE_1)
	s_and_saveexec_b32 s19, s7
	s_xor_b32 s7, exec_lo, s19
	s_cbranch_execz .LBB14_141
; %bb.140:                              ;   in Loop: Header=BB14_62 Depth=1
	v_mov_b32_e32 v13, 1
	s_wait_storecnt 0x0
	s_wait_loadcnt_dscnt 0x0
	ds_store_b32 v0, v5
	s_trap 2
.LBB14_141:                             ;   in Loop: Header=BB14_62 Depth=1
	s_or_b32 exec_lo, exec_lo, s7
	v_mov_b32_e32 v19, v13
.LBB14_142:                             ;   in Loop: Header=BB14_62 Depth=1
	s_or_b32 exec_lo, exec_lo, s18
	s_and_saveexec_b32 s7, s2
	s_cbranch_execz .LBB14_144
; %bb.143:                              ;   in Loop: Header=BB14_62 Depth=1
	v_and_b32_e32 v16, 0x7ffffff8, v4
	v_dual_mov_b32 v17, v12 :: v_dual_bitop2_b32 v4, 7, v4 bitop3:0x40
	s_delay_alu instid0(VALU_DEP_1) | instskip(NEXT) | instid1(VALU_DEP_2)
	v_cmp_eq_u64_e32 vcc_lo, 0x7ffffff8, v[16:17]
	v_mad_nc_u64_u32 v[4:5], v4, 24, v[2:3]
	v_cndmask_b32_e64 v13, v56, s13, vcc_lo
	s_delay_alu instid0(VALU_DEP_1) | instskip(NEXT) | instid1(VALU_DEP_1)
	v_lshlrev_b32_e32 v16, 4, v13
	v_ashrrev_i32_e32 v17, 31, v16
	flat_store_b64 v[4:5], v[16:17] offset:8 scope:SCOPE_SYS
	s_wait_storecnt 0x0
.LBB14_144:                             ;   in Loop: Header=BB14_62 Depth=1
	s_wait_xcnt 0x0
	s_or_b32 exec_lo, exec_lo, s7
	v_mov_b64_e32 v[4:5], v[14:15]
.LBB14_145:                             ;   in Loop: Header=BB14_62 Depth=1
	s_or_b32 exec_lo, exec_lo, s17
	s_and_saveexec_b32 s7, s3
	s_cbranch_execz .LBB14_164
; %bb.146:                              ;   in Loop: Header=BB14_62 Depth=1
	s_and_saveexec_b32 s17, s4
	s_delay_alu instid0(SALU_CYCLE_1)
	s_xor_b32 s17, exec_lo, s17
	s_cbranch_execz .LBB14_161
; %bb.147:                              ;   in Loop: Header=BB14_62 Depth=1
	s_and_saveexec_b32 s18, s5
	s_cbranch_execz .LBB14_160
; %bb.148:                              ;   in Loop: Header=BB14_62 Depth=1
	s_mov_b32 s20, exec_lo
	s_mov_b32 s19, exec_lo
	v_mbcnt_lo_u32_b32 v13, s20, 0
	global_wb scope:SCOPE_DEV
	s_wait_storecnt 0x0
	s_wait_loadcnt_dscnt 0x0
	global_inv scope:SCOPE_DEV
	v_cmpx_eq_u32_e32 0, v13
	s_cbranch_execz .LBB14_150
; %bb.149:                              ;   in Loop: Header=BB14_62 Depth=1
	s_bcnt1_i32_b32 s20, s20
	s_delay_alu instid0(SALU_CYCLE_1)
	v_dual_mov_b32 v15, v12 :: v_dual_mov_b32 v14, s20
	s_wait_loadcnt 0x0
	ds_add_u64 v0, v[14:15]
	s_trap 2
.LBB14_150:                             ;   in Loop: Header=BB14_62 Depth=1
	s_or_b32 exec_lo, exec_lo, s19
	s_trap 2
	ds_load_b64 v[14:15], v0
	s_wait_dscnt 0x0
	v_add_nc_u64_e32 v[52:53], v[52:53], v[80:81]
	s_mov_b32 s19, exec_lo
	s_delay_alu instid0(VALU_DEP_1)
	v_cmpx_lt_u64_e64 v[14:15], v[52:53]
	s_cbranch_execz .LBB14_159
; %bb.151:                              ;   in Loop: Header=BB14_62 Depth=1
	s_mov_b32 s20, 0
	s_mov_b32 s23, 0
                                        ; implicit-def: $sgpr21
                                        ; implicit-def: $sgpr22
	s_branch .LBB14_153
.LBB14_152:                             ;   in Loop: Header=BB14_153 Depth=2
	s_or_b32 exec_lo, exec_lo, s25
	s_delay_alu instid0(SALU_CYCLE_1) | instskip(NEXT) | instid1(SALU_CYCLE_1)
	s_and_b32 s24, exec_lo, s26
	s_or_b32 s20, s24, s20
	s_and_not1_b32 s21, s21, exec_lo
	s_and_b32 s24, s22, exec_lo
	s_delay_alu instid0(SALU_CYCLE_1)
	s_or_b32 s21, s21, s24
	s_and_not1_b32 exec_lo, exec_lo, s20
	s_cbranch_execz .LBB14_157
.LBB14_153:                             ;   Parent Loop BB14_62 Depth=1
                                        ; =>  This Inner Loop Header: Depth=2
	s_add_co_i32 s23, s23, 1
	s_delay_alu instid0(SALU_CYCLE_1) | instskip(SKIP_1) | instid1(SALU_CYCLE_1)
	s_cmp_lg_u32 s23, 0x2710
	s_cselect_b32 s24, -1, 0
	s_and_b32 vcc_lo, exec_lo, s24
	s_cbranch_vccz .LBB14_155
; %bb.154:                              ;   in Loop: Header=BB14_153 Depth=2
	s_mov_b32 s26, -1
	s_or_b32 s22, s22, exec_lo
	s_and_saveexec_b32 s25, s24
	s_cbranch_execz .LBB14_152
	s_branch .LBB14_156
.LBB14_155:                             ;   in Loop: Header=BB14_153 Depth=2
	s_trap 2
	ds_load_b64 v[14:15], v0
	s_and_not1_b32 s24, s24, exec_lo
	s_mov_b32 s23, 0
	s_wait_loadcnt_dscnt 0x0
	flat_load_b32 v13, v[14:15] scope:SCOPE_SYS
	s_wait_loadcnt_dscnt 0x0
	global_inv scope:SCOPE_SYS
	v_cmp_eq_u32_e32 vcc_lo, 0, v13
	s_and_b32 s25, vcc_lo, exec_lo
	s_delay_alu instid0(SALU_CYCLE_1)
	s_or_b32 s24, s24, s25
	s_mov_b32 s26, -1
	s_or_b32 s22, s22, exec_lo
	s_and_saveexec_b32 s25, s24
	s_cbranch_execz .LBB14_152
.LBB14_156:                             ;   in Loop: Header=BB14_153 Depth=2
	s_sleep 1
	s_trap 2
	ds_load_b64 v[14:15], v0
	s_wait_dscnt 0x0
	s_and_not1_b32 s22, s22, exec_lo
	v_cmp_ge_u64_e32 vcc_lo, v[14:15], v[52:53]
	s_or_not1_b32 s26, vcc_lo, exec_lo
	s_branch .LBB14_152
.LBB14_157:                             ;   in Loop: Header=BB14_62 Depth=1
	s_or_b32 exec_lo, exec_lo, s20
	s_and_saveexec_b32 s20, s21
	s_delay_alu instid0(SALU_CYCLE_1)
	s_xor_b32 s20, exec_lo, s20
	s_cbranch_execz .LBB14_159
; %bb.158:                              ;   in Loop: Header=BB14_62 Depth=1
	ds_store_b32 v0, v1
	s_trap 2
.LBB14_159:                             ;   in Loop: Header=BB14_62 Depth=1
	s_or_b32 exec_lo, exec_lo, s19
	;;#ASMSTART
	s_wakeup
	;;#ASMEND
.LBB14_160:                             ;   in Loop: Header=BB14_62 Depth=1
	s_or_b32 exec_lo, exec_lo, s18
.LBB14_161:                             ;   in Loop: Header=BB14_62 Depth=1
	s_and_not1_saveexec_b32 s17, s17
	s_cbranch_execz .LBB14_163
; %bb.162:                              ;   in Loop: Header=BB14_62 Depth=1
	global_wb scope:SCOPE_DEV
	s_wait_storecnt 0x0
	s_wait_loadcnt_dscnt 0x0
	global_inv scope:SCOPE_DEV
	s_barrier_signal -1
	s_barrier_wait -1
.LBB14_163:                             ;   in Loop: Header=BB14_62 Depth=1
	s_or_b32 exec_lo, exec_lo, s17
.LBB14_164:                             ;   in Loop: Header=BB14_62 Depth=1
	s_delay_alu instid0(SALU_CYCLE_1) | instskip(SKIP_3) | instid1(VALU_DEP_2)
	s_or_b32 exec_lo, exec_lo, s7
	v_dual_mov_b32 v114, v0 :: v_dual_sub_nc_u32 v115, v58, v66
	v_dual_add_nc_u32 v15, 1, v102 :: v_dual_bitop2_b32 v13, 7, v102 bitop3:0x40
	s_mov_b32 s7, exec_lo
	v_cmpx_lt_i32_e32 0, v115
	s_cbranch_execz .LBB14_172
; %bb.165:                              ;   in Loop: Header=BB14_62 Depth=1
	s_delay_alu instid0(VALU_DEP_2) | instskip(SKIP_3) | instid1(VALU_DEP_3)
	v_mul_lo_u32 v16, v13, s13
	v_mov_b64_e32 v[116:117], v[82:83]
	v_mov_b32_e32 v114, v0
	s_mov_b32 s17, 0
	v_dual_mov_b32 v42, v45 :: v_dual_ashrrev_i32 v17, 31, v16
	s_delay_alu instid0(VALU_DEP_1)
	v_lshl_add_u64 v[118:119], v[16:17], 4, v[96:97]
	s_branch .LBB14_167
.LBB14_166:                             ;   in Loop: Header=BB14_167 Depth=2
	s_wait_xcnt 0x0
	s_or_b32 exec_lo, exec_lo, s18
	s_wait_loadcnt 0x0
	v_alignbit_b32 v14, v57, v14, v42
	v_alignbit_b32 v16, v43, v57, v42
	v_dual_mov_b32 v17, v15 :: v_dual_add_nc_u32 v114, v114, v18
	v_dual_sub_nc_u32 v115, v115, v84 :: v_dual_add_nc_u32 v42, v42, v47
	v_add_nc_u64_e32 v[116:117], v[116:117], v[84:85]
	global_store_b128 v[118:119], v[14:17], off
	s_wait_xcnt 0x0
	v_add_nc_u64_e32 v[118:119], v[118:119], v[98:99]
	v_cmp_gt_i32_e32 vcc_lo, 1, v115
	s_or_b32 s17, vcc_lo, s17
	s_delay_alu instid0(SALU_CYCLE_1)
	s_and_not1_b32 exec_lo, exec_lo, s17
	s_cbranch_execz .LBB14_171
.LBB14_167:                             ;   Parent Loop BB14_62 Depth=1
                                        ; =>  This Inner Loop Header: Depth=2
	s_delay_alu instid0(VALU_DEP_4)
	v_dual_mov_b32 v17, v117 :: v_dual_bitop2_b32 v16, -4, v116 bitop3:0x40
	v_min_u32_e32 v40, 8, v115
	v_dual_mov_b32 v43, 0 :: v_dual_bitop2_b32 v41, 3, v116 bitop3:0x40
	v_mov_b32_e32 v57, 0
	global_load_b32 v14, v[16:17], off th:TH_LOAD_NT
	s_mov_b32 s18, exec_lo
	v_add_nc_u32_e32 v40, v41, v40
	s_wait_xcnt 0x0
	s_delay_alu instid0(VALU_DEP_1)
	v_cmpx_lt_u32_e32 4, v40
	s_cbranch_execz .LBB14_169
; %bb.168:                              ;   in Loop: Header=BB14_167 Depth=2
	global_load_b32 v57, v[16:17], off offset:4 th:TH_LOAD_NT
.LBB14_169:                             ;   in Loop: Header=BB14_167 Depth=2
	s_wait_xcnt 0x0
	s_or_b32 exec_lo, exec_lo, s18
	v_mov_b32_e32 v41, v12
	s_mov_b32 s18, exec_lo
	s_delay_alu instid0(VALU_DEP_1)
	v_cmpx_lt_u64_e32 8, v[40:41]
	s_cbranch_execz .LBB14_166
; %bb.170:                              ;   in Loop: Header=BB14_167 Depth=2
	global_load_b32 v43, v[16:17], off offset:8 th:TH_LOAD_NT
	s_branch .LBB14_166
.LBB14_171:                             ;   in Loop: Header=BB14_62 Depth=1
	s_or_b32 exec_lo, exec_lo, s17
.LBB14_172:                             ;   in Loop: Header=BB14_62 Depth=1
	s_delay_alu instid0(SALU_CYCLE_1) | instskip(SKIP_3) | instid1(VALU_DEP_2)
	s_or_b32 exec_lo, exec_lo, s7
	v_and_b32_e32 v16, 0x7ffffff8, v102
	v_mov_b32_e32 v17, v12
	v_cmp_gt_i32_e64 s7, s13, v114
	v_cmp_eq_u64_e32 vcc_lo, 0x7ffffff8, v[16:17]
	s_and_b32 s17, vcc_lo, s7
	s_delay_alu instid0(SALU_CYCLE_1)
	s_and_saveexec_b32 s7, s17
	s_cbranch_execz .LBB14_175
; %bb.173:                              ;   in Loop: Header=BB14_62 Depth=1
	v_mul_lo_u32 v16, v13, s13
	v_mov_b32_e32 v13, v15
	s_mov_b32 s17, 0
	s_delay_alu instid0(VALU_DEP_2) | instskip(NEXT) | instid1(VALU_DEP_1)
	v_dual_ashrrev_i32 v115, 31, v114 :: v_dual_ashrrev_i32 v17, 31, v16
	v_lshlrev_b64_e32 v[16:17], 4, v[16:17]
	s_delay_alu instid0(VALU_DEP_1) | instskip(NEXT) | instid1(VALU_DEP_1)
	v_lshl_add_u64 v[16:17], v[114:115], 4, v[16:17]
	v_add_nc_u64_e32 v[16:17], v[36:37], v[16:17]
.LBB14_174:                             ;   Parent Loop BB14_62 Depth=1
                                        ; =>  This Inner Loop Header: Depth=2
	v_dual_mov_b32 v14, v12 :: v_dual_add_nc_u32 v114, v114, v18
	v_mov_b32_e32 v15, v13
	s_delay_alu instid0(VALU_DEP_2) | instskip(SKIP_4) | instid1(SALU_CYCLE_1)
	v_cmp_le_i32_e32 vcc_lo, s13, v114
	global_store_b128 v[16:17], v[12:15], off
	s_wait_xcnt 0x0
	v_add_nc_u64_e32 v[16:17], v[16:17], v[98:99]
	s_or_b32 s17, vcc_lo, s17
	s_and_not1_b32 exec_lo, exec_lo, s17
	s_cbranch_execnz .LBB14_174
.LBB14_175:                             ;   in Loop: Header=BB14_62 Depth=1
	s_or_b32 exec_lo, exec_lo, s7
.LBB14_176:                             ;   in Loop: Header=BB14_62 Depth=1
	s_delay_alu instid0(SALU_CYCLE_1)
	s_or_b32 exec_lo, exec_lo, s8
	v_sub_nc_u32_e32 v57, v58, v66
	s_and_not1_b32 vcc_lo, exec_lo, s15
	s_mov_b32 s7, -1
                                        ; implicit-def: $vgpr13
	s_cbranch_vccnz .LBB14_178
; %bb.177:                              ;   in Loop: Header=BB14_62 Depth=1
	v_sub_nc_u32_e32 v13, v58, v66
	s_mov_b32 s7, 0
.LBB14_178:                             ;   in Loop: Header=BB14_62 Depth=1
	v_add_nc_u64_e32 v[114:115], 1, v[102:103]
	s_and_not1_b32 vcc_lo, exec_lo, s7
	s_cbranch_vccnz .LBB14_275
; %bb.179:                              ;   in Loop: Header=BB14_62 Depth=1
	v_add_nc_u64_e32 v[14:15], v[8:9], v[66:67]
	v_cmp_lt_i32_e64 s7, 0, v57
	v_add_nc_u16 v58, v102, 1
	s_mov_b32 s17, 1
	v_add_nc_u64_e32 v[112:113], v[14:15], v[112:113]
.LBB14_180:                             ;   Parent Loop BB14_62 Depth=1
                                        ; =>  This Loop Header: Depth=2
                                        ;       Child Loop BB14_185 Depth 3
                                        ;       Child Loop BB14_204 Depth 3
	;; [unrolled: 1-line block ×3, first 2 shown]
                                        ;         Child Loop BB14_230 Depth 4
                                        ;       Child Loop BB14_264 Depth 3
                                        ;       Child Loop BB14_221 Depth 3
	s_sub_co_i32 s8, s10, s17
	v_readfirstlane_b32 s18, v22
	v_mov_b32_e32 v13, s8
	v_readfirstlane_b32 s19, v23
	s_wait_loadcnt_dscnt 0x0
	flat_load_b32 v16, v13, s[18:19] scale_offset
	s_wait_xcnt 0x0
	s_and_saveexec_b32 s18, s1
	s_cbranch_execz .LBB14_196
; %bb.181:                              ;   in Loop: Header=BB14_180 Depth=2
	v_add_nc_u64_e32 v[14:15], 1, v[4:5]
	s_wait_loadcnt_dscnt 0x101
	v_add_nc_u64_e32 v[102:103], 8, v[64:65]
	s_mov_b32 s19, exec_lo
	s_delay_alu instid0(VALU_DEP_1)
	v_cmpx_lt_u64_e64 v[102:103], v[14:15]
	s_cbranch_execz .LBB14_193
; %bb.182:                              ;   in Loop: Header=BB14_180 Depth=2
	s_mov_b32 s20, 0
	s_mov_b32 s24, 0
	v_cmp_eq_u32_e32 vcc_lo, 0, v19
                                        ; implicit-def: $sgpr21
                                        ; implicit-def: $sgpr22
                                        ; implicit-def: $sgpr23
	s_branch .LBB14_185
.LBB14_183:                             ;   in Loop: Header=BB14_185 Depth=3
	s_or_b32 exec_lo, exec_lo, s29
	v_mov_b32_e32 v13, 0
	s_and_not1_b32 s8, s23, exec_lo
	s_and_b32 s23, s27, exec_lo
	s_and_not1_b32 s22, s22, exec_lo
	s_and_b32 s26, s26, exec_lo
	s_or_b32 s23, s8, s23
	s_or_b32 s22, s22, s26
.LBB14_184:                             ;   in Loop: Header=BB14_185 Depth=3
	s_or_b32 exec_lo, exec_lo, s25
	s_delay_alu instid0(SALU_CYCLE_1) | instskip(NEXT) | instid1(SALU_CYCLE_1)
	s_and_b32 s8, exec_lo, s22
	s_or_b32 s20, s8, s20
	s_and_not1_b32 s8, s21, exec_lo
	s_and_b32 s21, s23, exec_lo
	s_delay_alu instid0(SALU_CYCLE_1)
	s_or_b32 s21, s8, s21
	s_and_not1_b32 exec_lo, exec_lo, s20
	s_cbranch_execz .LBB14_190
.LBB14_185:                             ;   Parent Loop BB14_62 Depth=1
                                        ;     Parent Loop BB14_180 Depth=2
                                        ; =>    This Inner Loop Header: Depth=3
	s_sleep 1
	s_wait_loadcnt_dscnt 0x0
	flat_load_b64 v[64:65], v[50:51] scope:SCOPE_DEV
	v_mov_b32_e32 v13, v19
	s_or_b32 s23, s23, exec_lo
	s_or_b32 s22, s22, exec_lo
                                        ; implicit-def: $vgpr5
	s_wait_xcnt 0x0
	s_and_saveexec_b32 s25, vcc_lo
	s_cbranch_execz .LBB14_184
; %bb.186:                              ;   in Loop: Header=BB14_185 Depth=3
	s_add_co_i32 s24, s24, 1
	s_mov_b32 s26, -1
	s_cmp_lg_u32 s24, 0x2710
	s_mov_b32 s27, -1
	s_cselect_b32 s28, -1, 0
	s_cmp_eq_u32 s24, 0x2710
                                        ; implicit-def: $vgpr5
	s_cbranch_scc1 .LBB14_188
; %bb.187:                              ;   in Loop: Header=BB14_185 Depth=3
	s_and_saveexec_b32 s29, s28
	s_cbranch_execz .LBB14_183
	s_branch .LBB14_189
.LBB14_188:                             ;   in Loop: Header=BB14_185 Depth=3
	s_trap 2
	ds_load_b64 v[102:103], v0
	s_and_not1_b32 s24, s28, exec_lo
	s_mov_b32 s27, 0
	s_wait_storecnt 0x0
	s_wait_loadcnt_dscnt 0x0
	flat_load_b32 v5, v[102:103] scope:SCOPE_SYS
	s_wait_loadcnt_dscnt 0x0
	global_inv scope:SCOPE_SYS
	v_cmp_eq_u32_e64 s8, 0, v5
	s_and_b32 s8, s8, exec_lo
	s_delay_alu instid0(SALU_CYCLE_1)
	s_or_b32 s28, s24, s8
	s_mov_b32 s24, 0
	s_and_saveexec_b32 s29, s28
	s_cbranch_execz .LBB14_183
.LBB14_189:                             ;   in Loop: Header=BB14_185 Depth=3
	s_wait_loadcnt_dscnt 0x0
	v_add_nc_u64_e32 v[102:103], 8, v[64:65]
	s_or_b32 s27, s27, exec_lo
	s_delay_alu instid0(VALU_DEP_1)
	v_cmp_ge_u64_e64 s8, v[102:103], v[14:15]
	s_or_not1_b32 s26, s8, exec_lo
	s_branch .LBB14_183
.LBB14_190:                             ;   in Loop: Header=BB14_180 Depth=2
	s_or_b32 exec_lo, exec_lo, s20
	s_xor_b32 s8, s21, -1
	s_delay_alu instid0(SALU_CYCLE_1) | instskip(NEXT) | instid1(SALU_CYCLE_1)
	s_and_saveexec_b32 s20, s8
	s_xor_b32 s8, exec_lo, s20
	s_cbranch_execz .LBB14_192
; %bb.191:                              ;   in Loop: Header=BB14_180 Depth=2
	v_mov_b32_e32 v13, 1
	s_wait_storecnt 0x0
	s_wait_loadcnt_dscnt 0x0
	ds_store_b32 v0, v5
	s_trap 2
.LBB14_192:                             ;   in Loop: Header=BB14_180 Depth=2
	s_or_b32 exec_lo, exec_lo, s8
	v_mov_b32_e32 v19, v13
.LBB14_193:                             ;   in Loop: Header=BB14_180 Depth=2
	s_or_b32 exec_lo, exec_lo, s19
	s_and_saveexec_b32 s8, s2
	s_cbranch_execz .LBB14_195
; %bb.194:                              ;   in Loop: Header=BB14_180 Depth=2
	v_and_b32_e32 v102, 0x7ffffff8, v4
	v_dual_mov_b32 v103, v12 :: v_dual_bitop2_b32 v4, 7, v4 bitop3:0x40
	s_delay_alu instid0(VALU_DEP_1) | instskip(NEXT) | instid1(VALU_DEP_2)
	v_cmp_eq_u64_e32 vcc_lo, 0x7ffffff8, v[102:103]
	v_mad_nc_u64_u32 v[4:5], v4, 24, v[2:3]
	v_cndmask_b32_e64 v13, v56, s13, vcc_lo
	s_delay_alu instid0(VALU_DEP_1) | instskip(NEXT) | instid1(VALU_DEP_1)
	v_lshlrev_b32_e32 v102, 4, v13
	v_ashrrev_i32_e32 v103, 31, v102
	flat_store_b64 v[4:5], v[102:103] offset:8 scope:SCOPE_SYS
	s_wait_storecnt 0x0
.LBB14_195:                             ;   in Loop: Header=BB14_180 Depth=2
	s_wait_xcnt 0x0
	s_or_b32 exec_lo, exec_lo, s8
	v_mov_b64_e32 v[4:5], v[14:15]
.LBB14_196:                             ;   in Loop: Header=BB14_180 Depth=2
	s_or_b32 exec_lo, exec_lo, s18
	s_and_saveexec_b32 s8, s3
	s_cbranch_execz .LBB14_215
; %bb.197:                              ;   in Loop: Header=BB14_180 Depth=2
	s_and_saveexec_b32 s18, s4
	s_delay_alu instid0(SALU_CYCLE_1)
	s_xor_b32 s18, exec_lo, s18
	s_cbranch_execz .LBB14_212
; %bb.198:                              ;   in Loop: Header=BB14_180 Depth=2
	s_and_saveexec_b32 s19, s5
	s_cbranch_execz .LBB14_211
; %bb.199:                              ;   in Loop: Header=BB14_180 Depth=2
	s_mov_b32 s21, exec_lo
	s_mov_b32 s20, exec_lo
	v_mbcnt_lo_u32_b32 v13, s21, 0
	global_wb scope:SCOPE_DEV
	s_wait_storecnt 0x0
	s_wait_loadcnt_dscnt 0x0
	global_inv scope:SCOPE_DEV
	v_cmpx_eq_u32_e32 0, v13
	s_cbranch_execz .LBB14_201
; %bb.200:                              ;   in Loop: Header=BB14_180 Depth=2
	s_bcnt1_i32_b32 s21, s21
	s_delay_alu instid0(SALU_CYCLE_1)
	v_dual_mov_b32 v15, v12 :: v_dual_mov_b32 v14, s21
	s_wait_loadcnt 0x0
	ds_add_u64 v0, v[14:15]
	s_trap 2
.LBB14_201:                             ;   in Loop: Header=BB14_180 Depth=2
	s_or_b32 exec_lo, exec_lo, s20
	s_trap 2
	ds_load_b64 v[14:15], v0
	s_wait_dscnt 0x0
	v_add_nc_u64_e32 v[52:53], v[52:53], v[80:81]
	s_mov_b32 s20, exec_lo
	s_delay_alu instid0(VALU_DEP_1)
	v_cmpx_lt_u64_e64 v[14:15], v[52:53]
	s_cbranch_execz .LBB14_210
; %bb.202:                              ;   in Loop: Header=BB14_180 Depth=2
	s_mov_b32 s21, 0
	s_mov_b32 s24, 0
                                        ; implicit-def: $sgpr22
                                        ; implicit-def: $sgpr23
	s_branch .LBB14_204
.LBB14_203:                             ;   in Loop: Header=BB14_204 Depth=3
	s_or_b32 exec_lo, exec_lo, s26
	s_delay_alu instid0(SALU_CYCLE_1) | instskip(NEXT) | instid1(SALU_CYCLE_1)
	s_and_b32 s25, exec_lo, s27
	s_or_b32 s21, s25, s21
	s_and_not1_b32 s22, s22, exec_lo
	s_and_b32 s25, s23, exec_lo
	s_delay_alu instid0(SALU_CYCLE_1)
	s_or_b32 s22, s22, s25
	s_and_not1_b32 exec_lo, exec_lo, s21
	s_cbranch_execz .LBB14_208
.LBB14_204:                             ;   Parent Loop BB14_62 Depth=1
                                        ;     Parent Loop BB14_180 Depth=2
                                        ; =>    This Inner Loop Header: Depth=3
	s_add_co_i32 s24, s24, 1
	s_delay_alu instid0(SALU_CYCLE_1) | instskip(SKIP_1) | instid1(SALU_CYCLE_1)
	s_cmp_lg_u32 s24, 0x2710
	s_cselect_b32 s25, -1, 0
	s_and_b32 vcc_lo, exec_lo, s25
	s_cbranch_vccz .LBB14_206
; %bb.205:                              ;   in Loop: Header=BB14_204 Depth=3
	s_mov_b32 s27, -1
	s_or_b32 s23, s23, exec_lo
	s_and_saveexec_b32 s26, s25
	s_cbranch_execz .LBB14_203
	s_branch .LBB14_207
.LBB14_206:                             ;   in Loop: Header=BB14_204 Depth=3
	s_trap 2
	ds_load_b64 v[14:15], v0
	s_and_not1_b32 s25, s25, exec_lo
	s_mov_b32 s24, 0
	s_wait_loadcnt_dscnt 0x0
	flat_load_b32 v13, v[14:15] scope:SCOPE_SYS
	s_wait_loadcnt_dscnt 0x0
	global_inv scope:SCOPE_SYS
	v_cmp_eq_u32_e32 vcc_lo, 0, v13
	s_and_b32 s26, vcc_lo, exec_lo
	s_delay_alu instid0(SALU_CYCLE_1)
	s_or_b32 s25, s25, s26
	s_mov_b32 s27, -1
	s_or_b32 s23, s23, exec_lo
	s_and_saveexec_b32 s26, s25
	s_cbranch_execz .LBB14_203
.LBB14_207:                             ;   in Loop: Header=BB14_204 Depth=3
	s_sleep 1
	s_trap 2
	ds_load_b64 v[14:15], v0
	s_wait_dscnt 0x0
	s_and_not1_b32 s23, s23, exec_lo
	v_cmp_ge_u64_e32 vcc_lo, v[14:15], v[52:53]
	s_or_not1_b32 s27, vcc_lo, exec_lo
	s_branch .LBB14_203
.LBB14_208:                             ;   in Loop: Header=BB14_180 Depth=2
	s_or_b32 exec_lo, exec_lo, s21
	s_and_saveexec_b32 s21, s22
	s_delay_alu instid0(SALU_CYCLE_1)
	s_xor_b32 s21, exec_lo, s21
	s_cbranch_execz .LBB14_210
; %bb.209:                              ;   in Loop: Header=BB14_180 Depth=2
	ds_store_b32 v0, v1
	s_trap 2
.LBB14_210:                             ;   in Loop: Header=BB14_180 Depth=2
	s_or_b32 exec_lo, exec_lo, s20
	;;#ASMSTART
	s_wakeup
	;;#ASMEND
.LBB14_211:                             ;   in Loop: Header=BB14_180 Depth=2
	s_or_b32 exec_lo, exec_lo, s19
.LBB14_212:                             ;   in Loop: Header=BB14_180 Depth=2
	s_and_not1_saveexec_b32 s18, s18
	s_cbranch_execz .LBB14_214
; %bb.213:                              ;   in Loop: Header=BB14_180 Depth=2
	global_wb scope:SCOPE_DEV
	s_wait_storecnt 0x0
	s_wait_loadcnt_dscnt 0x0
	global_inv scope:SCOPE_DEV
	s_barrier_signal -1
	s_barrier_wait -1
.LBB14_214:                             ;   in Loop: Header=BB14_180 Depth=2
	s_or_b32 exec_lo, exec_lo, s18
.LBB14_215:                             ;   in Loop: Header=BB14_180 Depth=2
	s_delay_alu instid0(SALU_CYCLE_1)
	s_or_b32 exec_lo, exec_lo, s8
	v_dual_mov_b32 v102, v0 :: v_dual_add_nc_u32 v13, 1, v114
	s_and_saveexec_b32 s18, s7
	s_cbranch_execnz .LBB14_224
; %bb.216:                              ;   in Loop: Header=BB14_180 Depth=2
	s_or_b32 exec_lo, exec_lo, s18
	s_and_saveexec_b32 s8, s3
	s_cbranch_execnz .LBB14_257
.LBB14_217:                             ;   in Loop: Header=BB14_180 Depth=2
	s_or_b32 exec_lo, exec_lo, s8
	s_and_saveexec_b32 s8, s6
	s_cbranch_execz .LBB14_219
.LBB14_218:                             ;   in Loop: Header=BB14_180 Depth=2
	v_add_nc_u64_e32 v[38:39], 1, v[38:39]
	global_wb scope:SCOPE_SYS
	s_wait_storecnt 0x0
	s_wait_loadcnt_dscnt 0x0
	flat_store_b64 v[48:49], v[38:39] scope:SCOPE_SYS
.LBB14_219:                             ;   in Loop: Header=BB14_180 Depth=2
	s_wait_xcnt 0x0
	s_or_b32 exec_lo, exec_lo, s8
	v_and_b32_e32 v14, 0x7ffffff8, v114
	v_mov_b32_e32 v15, v12
	v_cmp_gt_i32_e64 s8, s13, v102
	s_delay_alu instid0(VALU_DEP_2) | instskip(SKIP_1) | instid1(SALU_CYCLE_1)
	v_cmp_eq_u64_e32 vcc_lo, 0x7ffffff8, v[14:15]
	s_and_b32 s18, vcc_lo, s8
	s_and_saveexec_b32 s8, s18
	s_cbranch_execz .LBB14_222
; %bb.220:                              ;   in Loop: Header=BB14_180 Depth=2
	v_and_b32_e32 v14, 7, v58
	v_ashrrev_i32_e32 v103, 31, v102
	s_mov_b32 s18, 0
	s_delay_alu instid0(VALU_DEP_2) | instskip(NEXT) | instid1(VALU_DEP_1)
	v_mul_lo_u32 v14, s13, v14
	v_ashrrev_i32_e32 v15, 31, v14
	s_delay_alu instid0(VALU_DEP_1) | instskip(NEXT) | instid1(VALU_DEP_1)
	v_lshlrev_b64_e32 v[14:15], 4, v[14:15]
	v_lshl_add_u64 v[14:15], v[102:103], 4, v[14:15]
	s_wait_loadcnt_dscnt 0x0
	s_delay_alu instid0(VALU_DEP_1)
	v_add_nc_u64_e32 v[16:17], v[36:37], v[14:15]
.LBB14_221:                             ;   Parent Loop BB14_62 Depth=1
                                        ;     Parent Loop BB14_180 Depth=2
                                        ; =>    This Inner Loop Header: Depth=3
	v_dual_mov_b32 v14, v12 :: v_dual_add_nc_u32 v102, v102, v18
	v_mov_b32_e32 v15, v13
	s_delay_alu instid0(VALU_DEP_2) | instskip(SKIP_4) | instid1(SALU_CYCLE_1)
	v_cmp_le_i32_e32 vcc_lo, s13, v102
	global_store_b128 v[16:17], v[12:15], off
	s_wait_xcnt 0x0
	v_add_nc_u64_e32 v[16:17], v[16:17], v[98:99]
	s_or_b32 s18, vcc_lo, s18
	s_and_not1_b32 exec_lo, exec_lo, s18
	s_cbranch_execnz .LBB14_221
.LBB14_222:                             ;   in Loop: Header=BB14_180 Depth=2
	s_or_b32 exec_lo, exec_lo, s8
	v_add_nc_u64_e32 v[34:35], 1, v[34:35]
	v_add_nc_u64_e32 v[114:115], 1, v[114:115]
	v_add_nc_u16 v58, v58, 1
	s_add_co_i32 s8, s17, 1
	s_cmp_eq_u32 s17, s16
	s_cbranch_scc1 .LBB14_276
; %bb.223:                              ;   in Loop: Header=BB14_180 Depth=2
	s_mov_b32 s17, s8
	s_branch .LBB14_180
.LBB14_224:                             ;   in Loop: Header=BB14_180 Depth=2
	s_wait_loadcnt_dscnt 0x0
	v_mad_nc_u64_u32 v[116:117], v24, v16, v[112:113]
	v_and_b32_e32 v14, 7, v34
	v_dual_mov_b32 v60, v57 :: v_dual_bitop2_b32 v15, 7, v114 bitop3:0x40
	v_add_nc_u32_e32 v59, 1, v34
	s_mov_b32 s19, 0
	s_delay_alu instid0(VALU_DEP_2) | instskip(SKIP_3) | instid1(VALU_DEP_4)
	v_mul_lo_u32 v102, v15, s13
	v_mad_u32 v17, v25, v16, v117
	v_ashrrev_i32_e32 v16, 31, v16
	v_mul_lo_u32 v14, v14, s13
	v_ashrrev_i32_e32 v103, 31, v102
	s_delay_alu instid0(VALU_DEP_3) | instskip(NEXT) | instid1(VALU_DEP_2)
	v_mad_u32 v117, v24, v16, v17
	v_lshl_add_u64 v[40:41], v[102:103], 4, v[36:37]
	s_delay_alu instid0(VALU_DEP_4) | instskip(NEXT) | instid1(VALU_DEP_1)
	v_dual_mov_b32 v102, v0 :: v_dual_ashrrev_i32 v15, 31, v14
	v_lshl_add_u64 v[118:119], v[14:15], 4, v[32:33]
	s_branch .LBB14_226
.LBB14_225:                             ;   in Loop: Header=BB14_226 Depth=3
	v_dual_sub_nc_u32 v60, v60, v84 :: v_dual_add_nc_u32 v102, v102, v18
	s_wait_xcnt 0x0
	v_add_nc_u64_e32 v[116:117], v[116:117], v[84:85]
	s_delay_alu instid0(VALU_DEP_2) | instskip(SKIP_1) | instid1(SALU_CYCLE_1)
	v_cmp_gt_i32_e32 vcc_lo, 1, v60
	s_or_b32 s19, vcc_lo, s19
	s_and_not1_b32 exec_lo, exec_lo, s19
	s_cbranch_execz .LBB14_256
.LBB14_226:                             ;   Parent Loop BB14_62 Depth=1
                                        ;     Parent Loop BB14_180 Depth=2
                                        ; =>    This Loop Header: Depth=3
                                        ;         Child Loop BB14_230 Depth 4
	s_delay_alu instid0(VALU_DEP_2) | instskip(SKIP_1) | instid1(VALU_DEP_1)
	v_ashrrev_i32_e32 v103, 31, v102
	s_mov_b32 s20, exec_lo
	v_lshl_add_u64 v[42:43], v[102:103], 4, v[118:119]
	global_load_b128 v[14:17], v[42:43], off th:TH_LOAD_NT
	s_wait_xcnt 0x0
	v_cmpx_eq_u32_e32 0, v19
	s_cbranch_execz .LBB14_238
; %bb.227:                              ;   in Loop: Header=BB14_226 Depth=3
	s_wait_loadcnt 0x0
	v_cmp_ne_u32_e32 vcc_lo, v59, v15
	v_cmp_ne_u32_e64 s8, v59, v17
	v_mov_b32_e32 v19, 0
	s_or_b32 s8, vcc_lo, s8
	s_delay_alu instid0(SALU_CYCLE_1)
	s_and_saveexec_b32 s21, s8
	s_cbranch_execz .LBB14_237
; %bb.228:                              ;   in Loop: Header=BB14_226 Depth=3
	s_mov_b32 s25, 1
	s_mov_b32 s23, 0
                                        ; implicit-def: $sgpr22
                                        ; implicit-def: $sgpr24
	s_branch .LBB14_230
.LBB14_229:                             ;   in Loop: Header=BB14_230 Depth=4
	s_or_b32 exec_lo, exec_lo, s27
	s_delay_alu instid0(SALU_CYCLE_1) | instskip(NEXT) | instid1(SALU_CYCLE_1)
	s_and_b32 s8, exec_lo, s8
	s_or_b32 s23, s8, s23
	s_and_not1_b32 s8, s22, exec_lo
	s_and_b32 s22, s24, exec_lo
	s_delay_alu instid0(SALU_CYCLE_1)
	s_or_b32 s22, s8, s22
	s_and_not1_b32 exec_lo, exec_lo, s23
	s_cbranch_execz .LBB14_234
.LBB14_230:                             ;   Parent Loop BB14_62 Depth=1
                                        ;     Parent Loop BB14_180 Depth=2
                                        ;       Parent Loop BB14_226 Depth=3
                                        ; =>      This Inner Loop Header: Depth=4
	s_wait_loadcnt 0x0
	global_load_b128 v[14:17], v[42:43], off th:TH_LOAD_NT
	s_add_co_i32 s25, s25, 1
	s_mov_b32 s8, -1
	s_cmp_lg_u32 s25, 0x2710
	s_mov_b32 s26, -1
                                        ; implicit-def: $vgpr61
	s_cbranch_scc0 .LBB14_232
; %bb.231:                              ;   in Loop: Header=BB14_230 Depth=4
	s_or_b32 s24, s24, exec_lo
	s_wait_xcnt 0x0
	s_and_saveexec_b32 s27, s26
	s_cbranch_execz .LBB14_229
	s_branch .LBB14_233
.LBB14_232:                             ;   in Loop: Header=BB14_230 Depth=4
	s_trap 2
	ds_load_b64 v[62:63], v0
	s_mov_b32 s25, 0
	s_wait_storecnt 0x0
	s_wait_loadcnt_dscnt 0x0
	flat_load_b32 v61, v[62:63] scope:SCOPE_SYS
	s_wait_loadcnt_dscnt 0x0
	global_inv scope:SCOPE_SYS
	v_cmp_eq_u32_e32 vcc_lo, 0, v61
	s_or_not1_b32 s26, vcc_lo, exec_lo
	s_or_b32 s24, s24, exec_lo
	s_wait_xcnt 0x0
	s_and_saveexec_b32 s27, s26
	s_cbranch_execz .LBB14_229
.LBB14_233:                             ;   in Loop: Header=BB14_230 Depth=4
	s_wait_loadcnt 0x0
	v_cmp_eq_u32_e32 vcc_lo, v59, v15
	v_cmp_eq_u32_e64 s8, v59, v17
	s_and_not1_b32 s24, s24, exec_lo
	s_and_b32 s8, vcc_lo, s8
	s_delay_alu instid0(SALU_CYCLE_1)
	s_or_not1_b32 s8, s8, exec_lo
	s_branch .LBB14_229
.LBB14_234:                             ;   in Loop: Header=BB14_226 Depth=3
	s_or_b32 exec_lo, exec_lo, s23
	v_mov_b32_e32 v19, 0
	s_and_saveexec_b32 s8, s22
	s_delay_alu instid0(SALU_CYCLE_1)
	s_xor_b32 s8, exec_lo, s8
	s_cbranch_execz .LBB14_236
; %bb.235:                              ;   in Loop: Header=BB14_226 Depth=3
	v_mov_b32_e32 v19, 1
	s_wait_loadcnt 0x0
	s_wait_storecnt 0x0
	ds_store_b32 v0, v61
	s_trap 2
.LBB14_236:                             ;   in Loop: Header=BB14_226 Depth=3
	s_or_b32 exec_lo, exec_lo, s8
.LBB14_237:                             ;   in Loop: Header=BB14_226 Depth=3
	s_delay_alu instid0(SALU_CYCLE_1)
	s_or_b32 exec_lo, exec_lo, s21
.LBB14_238:                             ;   in Loop: Header=BB14_226 Depth=3
	s_delay_alu instid0(SALU_CYCLE_1)
	s_or_b32 exec_lo, exec_lo, s20
	v_cmp_lt_u32_e32 vcc_lo, 7, v60
	v_lshl_add_u64 v[42:43], v[102:103], 4, v[40:41]
	s_wait_loadcnt 0x0
	v_dual_mov_b32 v15, v13 :: v_dual_mov_b32 v17, v13
	s_mov_b32 s8, -1
	s_cmp_lg_u32 vcc_lo, exec_lo
	global_store_b128 v[42:43], v[14:17], off
	s_cbranch_scc0 .LBB14_254
; %bb.239:                              ;   in Loop: Header=BB14_226 Depth=3
	s_mov_b32 s20, exec_lo
	flat_store_b8 v[116:117], v14
	s_wait_xcnt 0x0
	v_cmpx_ne_u32_e32 1, v60
	s_cbranch_execz .LBB14_241
; %bb.240:                              ;   in Loop: Header=BB14_226 Depth=3
	v_lshrrev_b32_e32 v15, 8, v14
	flat_store_b8 v[116:117], v15 offset:1
.LBB14_241:                             ;   in Loop: Header=BB14_226 Depth=3
	s_wait_xcnt 0x0
	s_or_b32 exec_lo, exec_lo, s20
	s_delay_alu instid0(SALU_CYCLE_1)
	s_mov_b32 s20, exec_lo
	v_cmpx_lt_u32_e32 2, v60
	s_cbranch_execz .LBB14_243
; %bb.242:                              ;   in Loop: Header=BB14_226 Depth=3
	flat_store_d16_hi_b8 v[116:117], v14 offset:2
.LBB14_243:                             ;   in Loop: Header=BB14_226 Depth=3
	s_wait_xcnt 0x0
	s_or_b32 exec_lo, exec_lo, s20
	s_delay_alu instid0(SALU_CYCLE_1)
	s_mov_b32 s20, exec_lo
	v_cmpx_lt_u32_e32 3, v60
	s_cbranch_execz .LBB14_245
; %bb.244:                              ;   in Loop: Header=BB14_226 Depth=3
	v_lshrrev_b32_e32 v15, 24, v14
	flat_store_b8 v[116:117], v15 offset:3
.LBB14_245:                             ;   in Loop: Header=BB14_226 Depth=3
	s_wait_xcnt 0x0
	s_or_b32 exec_lo, exec_lo, s20
	s_delay_alu instid0(SALU_CYCLE_1)
	s_mov_b32 s20, exec_lo
	v_cmpx_lt_u32_e32 4, v60
	s_cbranch_execz .LBB14_247
; %bb.246:                              ;   in Loop: Header=BB14_226 Depth=3
	flat_store_b8 v[116:117], v16 offset:4
.LBB14_247:                             ;   in Loop: Header=BB14_226 Depth=3
	s_wait_xcnt 0x0
	s_or_b32 exec_lo, exec_lo, s20
	s_delay_alu instid0(SALU_CYCLE_1)
	s_mov_b32 s20, exec_lo
	v_cmpx_lt_u32_e32 5, v60
	s_cbranch_execz .LBB14_249
; %bb.248:                              ;   in Loop: Header=BB14_226 Depth=3
	v_lshrrev_b32_e32 v15, 8, v16
	flat_store_b8 v[116:117], v15 offset:5
.LBB14_249:                             ;   in Loop: Header=BB14_226 Depth=3
	s_wait_xcnt 0x0
	s_or_b32 exec_lo, exec_lo, s20
	s_delay_alu instid0(SALU_CYCLE_1)
	s_mov_b32 s20, exec_lo
	v_cmpx_lt_u32_e32 6, v60
	s_cbranch_execz .LBB14_251
; %bb.250:                              ;   in Loop: Header=BB14_226 Depth=3
	flat_store_d16_hi_b8 v[116:117], v16 offset:6
.LBB14_251:                             ;   in Loop: Header=BB14_226 Depth=3
	s_wait_xcnt 0x0
	s_or_b32 exec_lo, exec_lo, s20
	s_and_saveexec_b32 s8, vcc_lo
	s_cbranch_execz .LBB14_253
; %bb.252:                              ;   in Loop: Header=BB14_226 Depth=3
	v_lshrrev_b32_e32 v15, 24, v16
	flat_store_b8 v[116:117], v15 offset:7
.LBB14_253:                             ;   in Loop: Header=BB14_226 Depth=3
	s_wait_xcnt 0x0
	s_or_b32 exec_lo, exec_lo, s8
	s_mov_b32 s8, 0
.LBB14_254:                             ;   in Loop: Header=BB14_226 Depth=3
	s_delay_alu instid0(SALU_CYCLE_1)
	s_and_b32 vcc_lo, exec_lo, s8
	s_cbranch_vccz .LBB14_225
; %bb.255:                              ;   in Loop: Header=BB14_226 Depth=3
	s_wait_xcnt 0x0
	v_mov_b32_e32 v15, v16
	global_store_b64 v[116:117], v[14:15], off
	s_branch .LBB14_225
.LBB14_256:                             ;   in Loop: Header=BB14_180 Depth=2
	s_or_b32 exec_lo, exec_lo, s19
	s_delay_alu instid0(SALU_CYCLE_1)
	s_or_b32 exec_lo, exec_lo, s18
	s_and_saveexec_b32 s8, s3
	s_cbranch_execz .LBB14_217
.LBB14_257:                             ;   in Loop: Header=BB14_180 Depth=2
	s_and_saveexec_b32 s18, s4
	s_delay_alu instid0(SALU_CYCLE_1)
	s_xor_b32 s18, exec_lo, s18
	s_cbranch_execz .LBB14_272
; %bb.258:                              ;   in Loop: Header=BB14_180 Depth=2
	s_and_saveexec_b32 s19, s5
	s_cbranch_execz .LBB14_271
; %bb.259:                              ;   in Loop: Header=BB14_180 Depth=2
	s_mov_b32 s21, exec_lo
	s_mov_b32 s20, exec_lo
	v_mbcnt_lo_u32_b32 v14, s21, 0
	global_wb scope:SCOPE_DEV
	s_wait_storecnt 0x0
	s_wait_loadcnt_dscnt 0x0
	global_inv scope:SCOPE_DEV
	v_cmpx_eq_u32_e32 0, v14
	s_cbranch_execz .LBB14_261
; %bb.260:                              ;   in Loop: Header=BB14_180 Depth=2
	s_bcnt1_i32_b32 s21, s21
	s_delay_alu instid0(SALU_CYCLE_1)
	v_dual_mov_b32 v15, v12 :: v_dual_mov_b32 v14, s21
	s_wait_loadcnt 0x0
	ds_add_u64 v0, v[14:15]
	s_trap 2
.LBB14_261:                             ;   in Loop: Header=BB14_180 Depth=2
	s_or_b32 exec_lo, exec_lo, s20
	s_trap 2
	ds_load_b64 v[14:15], v0
	s_wait_dscnt 0x0
	v_add_nc_u64_e32 v[52:53], v[52:53], v[80:81]
	s_mov_b32 s20, exec_lo
	s_delay_alu instid0(VALU_DEP_1)
	v_cmpx_lt_u64_e64 v[14:15], v[52:53]
	s_cbranch_execz .LBB14_270
; %bb.262:                              ;   in Loop: Header=BB14_180 Depth=2
	s_mov_b32 s21, 0
	s_mov_b32 s24, 0
                                        ; implicit-def: $sgpr22
                                        ; implicit-def: $sgpr23
	s_branch .LBB14_264
.LBB14_263:                             ;   in Loop: Header=BB14_264 Depth=3
	s_or_b32 exec_lo, exec_lo, s26
	s_delay_alu instid0(SALU_CYCLE_1) | instskip(NEXT) | instid1(SALU_CYCLE_1)
	s_and_b32 s25, exec_lo, s27
	s_or_b32 s21, s25, s21
	s_and_not1_b32 s22, s22, exec_lo
	s_and_b32 s25, s23, exec_lo
	s_delay_alu instid0(SALU_CYCLE_1)
	s_or_b32 s22, s22, s25
	s_and_not1_b32 exec_lo, exec_lo, s21
	s_cbranch_execz .LBB14_268
.LBB14_264:                             ;   Parent Loop BB14_62 Depth=1
                                        ;     Parent Loop BB14_180 Depth=2
                                        ; =>    This Inner Loop Header: Depth=3
	s_add_co_i32 s24, s24, 1
	s_delay_alu instid0(SALU_CYCLE_1) | instskip(SKIP_1) | instid1(SALU_CYCLE_1)
	s_cmp_lg_u32 s24, 0x2710
	s_cselect_b32 s25, -1, 0
	s_and_b32 vcc_lo, exec_lo, s25
	s_cbranch_vccz .LBB14_266
; %bb.265:                              ;   in Loop: Header=BB14_264 Depth=3
	s_mov_b32 s27, -1
	s_or_b32 s23, s23, exec_lo
	s_and_saveexec_b32 s26, s25
	s_cbranch_execz .LBB14_263
	s_branch .LBB14_267
.LBB14_266:                             ;   in Loop: Header=BB14_264 Depth=3
	s_trap 2
	ds_load_b64 v[14:15], v0
	s_and_not1_b32 s25, s25, exec_lo
	s_mov_b32 s24, 0
	s_wait_loadcnt_dscnt 0x0
	flat_load_b32 v14, v[14:15] scope:SCOPE_SYS
	s_wait_loadcnt_dscnt 0x0
	global_inv scope:SCOPE_SYS
	v_cmp_eq_u32_e32 vcc_lo, 0, v14
	s_and_b32 s26, vcc_lo, exec_lo
	s_delay_alu instid0(SALU_CYCLE_1)
	s_or_b32 s25, s25, s26
	s_mov_b32 s27, -1
	s_or_b32 s23, s23, exec_lo
	s_and_saveexec_b32 s26, s25
	s_cbranch_execz .LBB14_263
.LBB14_267:                             ;   in Loop: Header=BB14_264 Depth=3
	s_sleep 1
	s_trap 2
	ds_load_b64 v[14:15], v0
	s_wait_dscnt 0x0
	s_and_not1_b32 s23, s23, exec_lo
	v_cmp_ge_u64_e32 vcc_lo, v[14:15], v[52:53]
	s_or_not1_b32 s27, vcc_lo, exec_lo
	s_branch .LBB14_263
.LBB14_268:                             ;   in Loop: Header=BB14_180 Depth=2
	s_or_b32 exec_lo, exec_lo, s21
	s_and_saveexec_b32 s21, s22
	s_delay_alu instid0(SALU_CYCLE_1)
	s_xor_b32 s21, exec_lo, s21
	s_cbranch_execz .LBB14_270
; %bb.269:                              ;   in Loop: Header=BB14_180 Depth=2
	ds_store_b32 v0, v1
	s_trap 2
.LBB14_270:                             ;   in Loop: Header=BB14_180 Depth=2
	s_or_b32 exec_lo, exec_lo, s20
	;;#ASMSTART
	s_wakeup
	;;#ASMEND
.LBB14_271:                             ;   in Loop: Header=BB14_180 Depth=2
	s_or_b32 exec_lo, exec_lo, s19
.LBB14_272:                             ;   in Loop: Header=BB14_180 Depth=2
	s_and_not1_saveexec_b32 s18, s18
	s_cbranch_execz .LBB14_274
; %bb.273:                              ;   in Loop: Header=BB14_180 Depth=2
	global_wb scope:SCOPE_DEV
	s_wait_storecnt 0x0
	s_wait_loadcnt_dscnt 0x0
	global_inv scope:SCOPE_DEV
	s_barrier_signal -1
	s_barrier_wait -1
.LBB14_274:                             ;   in Loop: Header=BB14_180 Depth=2
	s_or_b32 exec_lo, exec_lo, s18
	s_delay_alu instid0(SALU_CYCLE_1)
	s_or_b32 exec_lo, exec_lo, s8
	s_and_saveexec_b32 s8, s6
	s_cbranch_execnz .LBB14_218
	s_branch .LBB14_219
.LBB14_275:                             ;   in Loop: Header=BB14_62 Depth=1
	s_delay_alu instid0(VALU_DEP_1)
	v_mov_b64_e32 v[102:103], v[114:115]
	v_mov_b32_e32 v57, v13
	s_branch .LBB14_277
.LBB14_276:                             ;   in Loop: Header=BB14_62 Depth=1
	s_delay_alu instid0(VALU_DEP_2)
	v_mov_b64_e32 v[102:103], v[114:115]
.LBB14_277:                             ;   in Loop: Header=BB14_62 Depth=1
	s_mov_b32 s8, exec_lo
	s_delay_alu instid0(VALU_DEP_1)
	v_cmpx_lt_i32_e32 0, v57
	s_cbranch_execnz .LBB14_280
; %bb.278:                              ;   in Loop: Header=BB14_62 Depth=1
	s_or_b32 exec_lo, exec_lo, s8
	s_and_saveexec_b32 s7, s3
	s_cbranch_execnz .LBB14_313
.LBB14_279:                             ;   in Loop: Header=BB14_62 Depth=1
	s_or_b32 exec_lo, exec_lo, s7
	s_and_saveexec_b32 s7, s6
	s_cbranch_execz .LBB14_61
	s_branch .LBB14_331
.LBB14_280:                             ;   in Loop: Header=BB14_62 Depth=1
	flat_load_b32 v13, v[22:23] offset:4
	s_wait_loadcnt_dscnt 0x101
	v_dual_mov_b32 v114, v0 :: v_dual_bitop2_b32 v16, 7, v34 bitop3:0x40
	s_mov_b32 s17, 0
	s_wait_loadcnt_dscnt 0x0
	v_mad_nc_u64_u32 v[14:15], v24, v13, v[100:101]
	s_delay_alu instid0(VALU_DEP_1) | instskip(SKIP_2) | instid1(VALU_DEP_2)
	v_mad_u32 v15, v25, v13, v15
	v_ashrrev_i32_e32 v13, 31, v13
	v_mul_lo_u32 v16, v16, s13
	v_mad_u32 v15, v24, v13, v15
	s_delay_alu instid0(VALU_DEP_2) | instskip(NEXT) | instid1(VALU_DEP_1)
	v_dual_add_nc_u32 v13, 1, v34 :: v_dual_ashrrev_i32 v17, 31, v16
	v_lshl_add_u64 v[112:113], v[16:17], 4, v[32:33]
	s_delay_alu instid0(VALU_DEP_3)
	v_add_nc_u64_e32 v[100:101], v[14:15], v[66:67]
	s_branch .LBB14_282
.LBB14_281:                             ;   in Loop: Header=BB14_282 Depth=2
	v_dual_sub_nc_u32 v57, v57, v84 :: v_dual_add_nc_u32 v114, v114, v18
	s_wait_xcnt 0x0
	v_add_nc_u64_e32 v[100:101], v[100:101], v[84:85]
	s_delay_alu instid0(VALU_DEP_2) | instskip(SKIP_1) | instid1(SALU_CYCLE_1)
	v_cmp_gt_i32_e32 vcc_lo, 1, v57
	s_or_b32 s17, vcc_lo, s17
	s_and_not1_b32 exec_lo, exec_lo, s17
	s_cbranch_execz .LBB14_312
.LBB14_282:                             ;   Parent Loop BB14_62 Depth=1
                                        ; =>  This Loop Header: Depth=2
                                        ;       Child Loop BB14_286 Depth 3
	v_ashrrev_i32_e32 v115, 31, v114
	s_mov_b32 s18, exec_lo
	s_delay_alu instid0(VALU_DEP_1)
	v_lshl_add_u64 v[116:117], v[114:115], 4, v[112:113]
	s_wait_loadcnt 0x0
	global_load_b128 v[14:17], v[116:117], off th:TH_LOAD_NT
	s_wait_xcnt 0x0
	v_cmpx_eq_u32_e32 0, v19
	s_cbranch_execz .LBB14_294
; %bb.283:                              ;   in Loop: Header=BB14_282 Depth=2
	s_wait_loadcnt 0x0
	v_cmp_ne_u32_e32 vcc_lo, v13, v15
	v_cmp_ne_u32_e64 s7, v13, v17
	v_mov_b32_e32 v19, 0
	s_or_b32 s7, vcc_lo, s7
	s_delay_alu instid0(SALU_CYCLE_1)
	s_and_saveexec_b32 s19, s7
	s_cbranch_execz .LBB14_293
; %bb.284:                              ;   in Loop: Header=BB14_282 Depth=2
	s_mov_b32 s23, 1
	s_mov_b32 s21, 0
                                        ; implicit-def: $sgpr20
                                        ; implicit-def: $sgpr22
	s_branch .LBB14_286
.LBB14_285:                             ;   in Loop: Header=BB14_286 Depth=3
	s_or_b32 exec_lo, exec_lo, s25
	s_delay_alu instid0(SALU_CYCLE_1) | instskip(NEXT) | instid1(SALU_CYCLE_1)
	s_and_b32 s7, exec_lo, s7
	s_or_b32 s21, s7, s21
	s_and_not1_b32 s7, s20, exec_lo
	s_and_b32 s20, s22, exec_lo
	s_delay_alu instid0(SALU_CYCLE_1)
	s_or_b32 s20, s7, s20
	s_and_not1_b32 exec_lo, exec_lo, s21
	s_cbranch_execz .LBB14_290
.LBB14_286:                             ;   Parent Loop BB14_62 Depth=1
                                        ;     Parent Loop BB14_282 Depth=2
                                        ; =>    This Inner Loop Header: Depth=3
	s_wait_loadcnt 0x0
	global_load_b128 v[14:17], v[116:117], off th:TH_LOAD_NT
	s_add_co_i32 s23, s23, 1
	s_mov_b32 s7, -1
	s_cmp_lg_u32 s23, 0x2710
	s_mov_b32 s24, -1
                                        ; implicit-def: $vgpr115
	s_cbranch_scc0 .LBB14_288
; %bb.287:                              ;   in Loop: Header=BB14_286 Depth=3
	s_or_b32 s22, s22, exec_lo
	s_wait_xcnt 0x0
	s_and_saveexec_b32 s25, s24
	s_cbranch_execz .LBB14_285
	s_branch .LBB14_289
.LBB14_288:                             ;   in Loop: Header=BB14_286 Depth=3
	s_trap 2
	ds_load_b64 v[118:119], v0
	s_mov_b32 s23, 0
	s_wait_storecnt 0x0
	s_wait_loadcnt_dscnt 0x0
	flat_load_b32 v115, v[118:119] scope:SCOPE_SYS
	s_wait_loadcnt_dscnt 0x0
	global_inv scope:SCOPE_SYS
	v_cmp_eq_u32_e32 vcc_lo, 0, v115
	s_or_not1_b32 s24, vcc_lo, exec_lo
	s_or_b32 s22, s22, exec_lo
	s_wait_xcnt 0x0
	s_and_saveexec_b32 s25, s24
	s_cbranch_execz .LBB14_285
.LBB14_289:                             ;   in Loop: Header=BB14_286 Depth=3
	s_wait_loadcnt 0x0
	v_cmp_eq_u32_e32 vcc_lo, v13, v15
	v_cmp_eq_u32_e64 s7, v13, v17
	s_and_not1_b32 s22, s22, exec_lo
	s_and_b32 s7, vcc_lo, s7
	s_delay_alu instid0(SALU_CYCLE_1)
	s_or_not1_b32 s7, s7, exec_lo
	s_branch .LBB14_285
.LBB14_290:                             ;   in Loop: Header=BB14_282 Depth=2
	s_or_b32 exec_lo, exec_lo, s21
	v_mov_b32_e32 v19, 0
	s_and_saveexec_b32 s7, s20
	s_delay_alu instid0(SALU_CYCLE_1)
	s_xor_b32 s7, exec_lo, s7
	s_cbranch_execz .LBB14_292
; %bb.291:                              ;   in Loop: Header=BB14_282 Depth=2
	v_mov_b32_e32 v19, 1
	s_wait_loadcnt 0x0
	s_wait_storecnt 0x0
	ds_store_b32 v0, v115
	s_trap 2
.LBB14_292:                             ;   in Loop: Header=BB14_282 Depth=2
	s_or_b32 exec_lo, exec_lo, s7
.LBB14_293:                             ;   in Loop: Header=BB14_282 Depth=2
	s_delay_alu instid0(SALU_CYCLE_1)
	s_or_b32 exec_lo, exec_lo, s19
.LBB14_294:                             ;   in Loop: Header=BB14_282 Depth=2
	s_delay_alu instid0(SALU_CYCLE_1)
	s_or_b32 exec_lo, exec_lo, s18
	v_cmp_lt_u32_e32 vcc_lo, 7, v57
	s_mov_b32 s7, -1
	s_cmp_lg_u32 vcc_lo, exec_lo
	s_cbranch_scc0 .LBB14_310
; %bb.295:                              ;   in Loop: Header=BB14_282 Depth=2
	s_mov_b32 s18, exec_lo
	s_wait_loadcnt 0x0
	flat_store_b8 v[100:101], v14
	s_wait_xcnt 0x0
	v_cmpx_ne_u32_e32 1, v57
	s_cbranch_execz .LBB14_297
; %bb.296:                              ;   in Loop: Header=BB14_282 Depth=2
	v_lshrrev_b32_e32 v15, 8, v14
	flat_store_b8 v[100:101], v15 offset:1
.LBB14_297:                             ;   in Loop: Header=BB14_282 Depth=2
	s_wait_xcnt 0x0
	s_or_b32 exec_lo, exec_lo, s18
	s_delay_alu instid0(SALU_CYCLE_1)
	s_mov_b32 s18, exec_lo
	v_cmpx_lt_u32_e32 2, v57
	s_cbranch_execz .LBB14_299
; %bb.298:                              ;   in Loop: Header=BB14_282 Depth=2
	flat_store_d16_hi_b8 v[100:101], v14 offset:2
.LBB14_299:                             ;   in Loop: Header=BB14_282 Depth=2
	s_wait_xcnt 0x0
	s_or_b32 exec_lo, exec_lo, s18
	s_delay_alu instid0(SALU_CYCLE_1)
	s_mov_b32 s18, exec_lo
	v_cmpx_lt_u32_e32 3, v57
	s_cbranch_execz .LBB14_301
; %bb.300:                              ;   in Loop: Header=BB14_282 Depth=2
	v_lshrrev_b32_e32 v15, 24, v14
	flat_store_b8 v[100:101], v15 offset:3
.LBB14_301:                             ;   in Loop: Header=BB14_282 Depth=2
	s_wait_xcnt 0x0
	s_or_b32 exec_lo, exec_lo, s18
	s_delay_alu instid0(SALU_CYCLE_1)
	s_mov_b32 s18, exec_lo
	v_cmpx_lt_u32_e32 4, v57
	s_cbranch_execz .LBB14_303
; %bb.302:                              ;   in Loop: Header=BB14_282 Depth=2
	flat_store_b8 v[100:101], v16 offset:4
.LBB14_303:                             ;   in Loop: Header=BB14_282 Depth=2
	s_wait_xcnt 0x0
	s_or_b32 exec_lo, exec_lo, s18
	s_delay_alu instid0(SALU_CYCLE_1)
	s_mov_b32 s18, exec_lo
	v_cmpx_lt_u32_e32 5, v57
	s_cbranch_execz .LBB14_305
; %bb.304:                              ;   in Loop: Header=BB14_282 Depth=2
	v_lshrrev_b32_e32 v15, 8, v16
	flat_store_b8 v[100:101], v15 offset:5
.LBB14_305:                             ;   in Loop: Header=BB14_282 Depth=2
	s_wait_xcnt 0x0
	s_or_b32 exec_lo, exec_lo, s18
	s_delay_alu instid0(SALU_CYCLE_1)
	s_mov_b32 s18, exec_lo
	v_cmpx_lt_u32_e32 6, v57
	s_cbranch_execz .LBB14_307
; %bb.306:                              ;   in Loop: Header=BB14_282 Depth=2
	flat_store_d16_hi_b8 v[100:101], v16 offset:6
.LBB14_307:                             ;   in Loop: Header=BB14_282 Depth=2
	s_wait_xcnt 0x0
	s_or_b32 exec_lo, exec_lo, s18
	s_and_saveexec_b32 s7, vcc_lo
	s_cbranch_execz .LBB14_309
; %bb.308:                              ;   in Loop: Header=BB14_282 Depth=2
	v_lshrrev_b32_e32 v15, 24, v16
	flat_store_b8 v[100:101], v15 offset:7
.LBB14_309:                             ;   in Loop: Header=BB14_282 Depth=2
	s_wait_xcnt 0x0
	s_or_b32 exec_lo, exec_lo, s7
	s_mov_b32 s7, 0
.LBB14_310:                             ;   in Loop: Header=BB14_282 Depth=2
	s_delay_alu instid0(SALU_CYCLE_1)
	s_and_b32 vcc_lo, exec_lo, s7
	s_cbranch_vccz .LBB14_281
; %bb.311:                              ;   in Loop: Header=BB14_282 Depth=2
	s_wait_loadcnt 0x0
	v_mov_b32_e32 v15, v16
	global_store_b64 v[100:101], v[14:15], off
	s_branch .LBB14_281
.LBB14_312:                             ;   in Loop: Header=BB14_62 Depth=1
	s_or_b32 exec_lo, exec_lo, s17
	s_delay_alu instid0(SALU_CYCLE_1)
	s_or_b32 exec_lo, exec_lo, s8
	s_and_saveexec_b32 s7, s3
	s_cbranch_execz .LBB14_279
.LBB14_313:                             ;   in Loop: Header=BB14_62 Depth=1
	s_and_saveexec_b32 s8, s4
	s_delay_alu instid0(SALU_CYCLE_1)
	s_xor_b32 s8, exec_lo, s8
	s_cbranch_execz .LBB14_328
; %bb.314:                              ;   in Loop: Header=BB14_62 Depth=1
	s_and_saveexec_b32 s17, s5
	s_cbranch_execz .LBB14_327
; %bb.315:                              ;   in Loop: Header=BB14_62 Depth=1
	s_mov_b32 s19, exec_lo
	s_mov_b32 s18, exec_lo
	v_mbcnt_lo_u32_b32 v13, s19, 0
	global_wb scope:SCOPE_DEV
	s_wait_storecnt 0x0
	s_wait_loadcnt_dscnt 0x0
	global_inv scope:SCOPE_DEV
	v_cmpx_eq_u32_e32 0, v13
	s_cbranch_execz .LBB14_317
; %bb.316:                              ;   in Loop: Header=BB14_62 Depth=1
	s_bcnt1_i32_b32 s19, s19
	s_delay_alu instid0(SALU_CYCLE_1)
	v_dual_mov_b32 v15, v12 :: v_dual_mov_b32 v14, s19
	s_wait_loadcnt 0x0
	ds_add_u64 v0, v[14:15]
	s_trap 2
.LBB14_317:                             ;   in Loop: Header=BB14_62 Depth=1
	s_or_b32 exec_lo, exec_lo, s18
	s_trap 2
	ds_load_b64 v[14:15], v0
	s_wait_dscnt 0x0
	v_add_nc_u64_e32 v[52:53], v[52:53], v[80:81]
	s_mov_b32 s18, exec_lo
	s_delay_alu instid0(VALU_DEP_1)
	v_cmpx_lt_u64_e64 v[14:15], v[52:53]
	s_cbranch_execz .LBB14_326
; %bb.318:                              ;   in Loop: Header=BB14_62 Depth=1
	s_mov_b32 s19, 0
	s_mov_b32 s22, 0
                                        ; implicit-def: $sgpr20
                                        ; implicit-def: $sgpr21
	s_branch .LBB14_320
.LBB14_319:                             ;   in Loop: Header=BB14_320 Depth=2
	s_or_b32 exec_lo, exec_lo, s24
	s_delay_alu instid0(SALU_CYCLE_1) | instskip(NEXT) | instid1(SALU_CYCLE_1)
	s_and_b32 s23, exec_lo, s25
	s_or_b32 s19, s23, s19
	s_and_not1_b32 s20, s20, exec_lo
	s_and_b32 s23, s21, exec_lo
	s_delay_alu instid0(SALU_CYCLE_1)
	s_or_b32 s20, s20, s23
	s_and_not1_b32 exec_lo, exec_lo, s19
	s_cbranch_execz .LBB14_324
.LBB14_320:                             ;   Parent Loop BB14_62 Depth=1
                                        ; =>  This Inner Loop Header: Depth=2
	s_add_co_i32 s22, s22, 1
	s_delay_alu instid0(SALU_CYCLE_1) | instskip(SKIP_1) | instid1(SALU_CYCLE_1)
	s_cmp_lg_u32 s22, 0x2710
	s_cselect_b32 s23, -1, 0
	s_and_b32 vcc_lo, exec_lo, s23
	s_cbranch_vccz .LBB14_322
; %bb.321:                              ;   in Loop: Header=BB14_320 Depth=2
	s_mov_b32 s25, -1
	s_or_b32 s21, s21, exec_lo
	s_and_saveexec_b32 s24, s23
	s_cbranch_execz .LBB14_319
	s_branch .LBB14_323
.LBB14_322:                             ;   in Loop: Header=BB14_320 Depth=2
	s_trap 2
	ds_load_b64 v[14:15], v0
	s_and_not1_b32 s23, s23, exec_lo
	s_mov_b32 s22, 0
	s_wait_loadcnt_dscnt 0x0
	flat_load_b32 v13, v[14:15] scope:SCOPE_SYS
	s_wait_loadcnt_dscnt 0x0
	global_inv scope:SCOPE_SYS
	v_cmp_eq_u32_e32 vcc_lo, 0, v13
	s_and_b32 s24, vcc_lo, exec_lo
	s_delay_alu instid0(SALU_CYCLE_1)
	s_or_b32 s23, s23, s24
	s_mov_b32 s25, -1
	s_or_b32 s21, s21, exec_lo
	s_and_saveexec_b32 s24, s23
	s_cbranch_execz .LBB14_319
.LBB14_323:                             ;   in Loop: Header=BB14_320 Depth=2
	s_sleep 1
	s_trap 2
	ds_load_b64 v[14:15], v0
	s_wait_dscnt 0x0
	s_and_not1_b32 s21, s21, exec_lo
	v_cmp_ge_u64_e32 vcc_lo, v[14:15], v[52:53]
	s_or_not1_b32 s25, vcc_lo, exec_lo
	s_branch .LBB14_319
.LBB14_324:                             ;   in Loop: Header=BB14_62 Depth=1
	s_or_b32 exec_lo, exec_lo, s19
	s_and_saveexec_b32 s19, s20
	s_delay_alu instid0(SALU_CYCLE_1)
	s_xor_b32 s19, exec_lo, s19
	s_cbranch_execz .LBB14_326
; %bb.325:                              ;   in Loop: Header=BB14_62 Depth=1
	ds_store_b32 v0, v1
	s_trap 2
.LBB14_326:                             ;   in Loop: Header=BB14_62 Depth=1
	s_or_b32 exec_lo, exec_lo, s18
	;;#ASMSTART
	s_wakeup
	;;#ASMEND
.LBB14_327:                             ;   in Loop: Header=BB14_62 Depth=1
	s_or_b32 exec_lo, exec_lo, s17
.LBB14_328:                             ;   in Loop: Header=BB14_62 Depth=1
	s_and_not1_saveexec_b32 s8, s8
	s_cbranch_execz .LBB14_330
; %bb.329:                              ;   in Loop: Header=BB14_62 Depth=1
	global_wb scope:SCOPE_DEV
	s_wait_storecnt 0x0
	s_wait_loadcnt_dscnt 0x0
	global_inv scope:SCOPE_DEV
	s_barrier_signal -1
	s_barrier_wait -1
.LBB14_330:                             ;   in Loop: Header=BB14_62 Depth=1
	s_or_b32 exec_lo, exec_lo, s8
	s_delay_alu instid0(SALU_CYCLE_1)
	s_or_b32 exec_lo, exec_lo, s7
	s_and_saveexec_b32 s7, s6
	s_cbranch_execz .LBB14_61
.LBB14_331:                             ;   in Loop: Header=BB14_62 Depth=1
	v_add_nc_u64_e32 v[38:39], 1, v[38:39]
	global_wb scope:SCOPE_SYS
	s_wait_storecnt 0x0
	s_wait_loadcnt_dscnt 0x0
	flat_store_b64 v[48:49], v[38:39] scope:SCOPE_SYS
	s_branch .LBB14_61
.LBB14_332:
	s_or_b32 exec_lo, exec_lo, s14
	s_delay_alu instid0(SALU_CYCLE_1)
	s_or_b32 exec_lo, exec_lo, s12
	s_and_saveexec_b32 s1, s9
	s_cbranch_execz .LBB14_46
.LBB14_333:
	s_wait_dscnt 0x0
	flat_store_b64 v[28:29], v[38:39] offset:104
	s_wait_xcnt 0x0
	s_or_b32 exec_lo, exec_lo, s1
	s_and_saveexec_b32 s1, s0
	s_cbranch_execnz .LBB14_47
	s_branch .LBB14_48
.LBB14_334:
	s_or_b32 exec_lo, exec_lo, s4
	s_and_saveexec_b32 s4, s5
	s_delay_alu instid0(SALU_CYCLE_1)
	s_xor_b32 s4, exec_lo, s4
	s_cbranch_execz .LBB14_336
; %bb.335:
	v_mov_b32_e32 v0, 1
	ds_store_b32 v0, v0
	s_trap 2
.LBB14_336:
	s_or_b32 exec_lo, exec_lo, s3
	;;#ASMSTART
	s_wakeup
	;;#ASMEND
.LBB14_337:
	s_or_b32 exec_lo, exec_lo, s2
.LBB14_338:
	s_and_not1_saveexec_b32 s1, s1
	s_cbranch_execz .LBB14_340
; %bb.339:
	global_wb scope:SCOPE_DEV
	s_wait_storecnt 0x0
	s_wait_loadcnt_dscnt 0x0
	global_inv scope:SCOPE_DEV
	s_barrier_signal -1
	s_barrier_wait -1
.LBB14_340:
	s_or_b32 exec_lo, exec_lo, s0
.LBB14_341:
	s_delay_alu instid0(SALU_CYCLE_1)
	s_or_b32 exec_lo, exec_lo, s11
	s_clause 0xf
	scratch_load_b32 v63, off, s32
	scratch_load_b32 v62, off, s32 offset:4
	scratch_load_b32 v61, off, s32 offset:8
	;; [unrolled: 1-line block ×15, first 2 shown]
	s_wait_loadcnt_dscnt 0x0
	s_set_pc_i64 s[30:31]
.Lfunc_end14:
	.size	_ZN12_GLOBAL__N_17runRingIa7FuncSumIaE7ProtoLLLi0ELi4ELi0ELb0EEEviiP15ncclDevWorkColl, .Lfunc_end14-_ZN12_GLOBAL__N_17runRingIa7FuncSumIaE7ProtoLLLi0ELi4ELi0ELb0EEEviiP15ncclDevWorkColl
                                        ; -- End function
	.set .L_ZN12_GLOBAL__N_17runRingIa7FuncSumIaE7ProtoLLLi0ELi4ELi0ELb0EEEviiP15ncclDevWorkColl.num_vgpr, 120
	.set .L_ZN12_GLOBAL__N_17runRingIa7FuncSumIaE7ProtoLLLi0ELi4ELi0ELb0EEEviiP15ncclDevWorkColl.num_agpr, 0
	.set .L_ZN12_GLOBAL__N_17runRingIa7FuncSumIaE7ProtoLLLi0ELi4ELi0ELb0EEEviiP15ncclDevWorkColl.numbered_sgpr, 33
	.set .L_ZN12_GLOBAL__N_17runRingIa7FuncSumIaE7ProtoLLLi0ELi4ELi0ELb0EEEviiP15ncclDevWorkColl.num_named_barrier, 0
	.set .L_ZN12_GLOBAL__N_17runRingIa7FuncSumIaE7ProtoLLLi0ELi4ELi0ELb0EEEviiP15ncclDevWorkColl.private_seg_size, 68
	.set .L_ZN12_GLOBAL__N_17runRingIa7FuncSumIaE7ProtoLLLi0ELi4ELi0ELb0EEEviiP15ncclDevWorkColl.uses_vcc, 1
	.set .L_ZN12_GLOBAL__N_17runRingIa7FuncSumIaE7ProtoLLLi0ELi4ELi0ELb0EEEviiP15ncclDevWorkColl.uses_flat_scratch, 1
	.set .L_ZN12_GLOBAL__N_17runRingIa7FuncSumIaE7ProtoLLLi0ELi4ELi0ELb0EEEviiP15ncclDevWorkColl.has_dyn_sized_stack, 0
	.set .L_ZN12_GLOBAL__N_17runRingIa7FuncSumIaE7ProtoLLLi0ELi4ELi0ELb0EEEviiP15ncclDevWorkColl.has_recursion, 0
	.set .L_ZN12_GLOBAL__N_17runRingIa7FuncSumIaE7ProtoLLLi0ELi4ELi0ELb0EEEviiP15ncclDevWorkColl.has_indirect_call, 0
	.section	.AMDGPU.csdata,"",@progbits
; Function info:
; codeLenInByte = 12172
; TotalNumSgprs: 35
; NumVgprs: 120
; ScratchSize: 68
; MemoryBound: 0
	.text
	.p2align	2                               ; -- Begin function _Z42ncclDevFunc_AllGather_RING_LL_Sum_i8_0_0_4v
	.type	_Z42ncclDevFunc_AllGather_RING_LL_Sum_i8_0_0_4v,@function
_Z42ncclDevFunc_AllGather_RING_LL_Sum_i8_0_0_4v: ; @_Z42ncclDevFunc_AllGather_RING_LL_Sum_i8_0_0_4v
; %bb.0:
	s_wait_loadcnt_dscnt 0x0
	s_wait_kmcnt 0x0
	s_mov_b32 s47, s33
	s_mov_b32 s33, s32
	s_or_saveexec_b32 s0, -1
	scratch_store_b32 off, v42, s33 offset:8 ; 4-byte Folded Spill
	s_wait_xcnt 0x0
	s_mov_b32 exec_lo, s0
	s_add_co_i32 s32, s32, 16
	s_clause 0x1
	scratch_store_b32 off, v40, s33 offset:4
	; meta instruction
	scratch_store_b32 off, v41, s33
	v_writelane_b32 v42, s30, 0
	v_writelane_b32 v42, s31, 1
	s_trap 2
	ds_load_b32 v0, v0
	s_wait_xcnt 0x1
	v_mov_b32_e32 v40, v31
	s_wait_dscnt 0x0
	v_cmp_gt_i32_e32 vcc_lo, 1, v0
	s_cbranch_vccnz .LBB15_8
; %bb.1:
	s_wait_xcnt 0x0
	v_and_b32_e32 v41, 0x3ff, v40
	s_mov_b32 s42, s12
	s_mov_b64 s[40:41], s[8:9]
	s_mov_b32 s43, 0
	s_get_pc_i64 s[44:45]
	s_add_nc_u64 s[44:45], s[44:45], _ZN12_GLOBAL__N_17runRingIa7FuncSumIaE7ProtoLLLi0ELi4ELi0ELb0EEEviiP15ncclDevWorkColl@rel64+4
	s_branch .LBB15_3
.LBB15_2:                               ;   in Loop: Header=BB15_3 Depth=1
	s_or_b32 exec_lo, exec_lo, s46
	s_trap 2
	ds_load_b32 v0, v0
	s_add_co_i32 s43, s43, 1
	s_wait_dscnt 0x0
	v_cmp_lt_i32_e32 vcc_lo, s43, v0
	s_cbranch_vccz .LBB15_8
.LBB15_3:                               ; =>This Inner Loop Header: Depth=1
	s_trap 2
	ds_load_b32 v0, v0
	s_cmp_eq_u32 s43, 0
	s_cbranch_scc1 .LBB15_6
; %bb.4:                                ;   in Loop: Header=BB15_3 Depth=1
	s_trap 2
	s_wait_dscnt 0x0
	ds_load_b32 v1, v0
	s_wait_dscnt 0x0
	v_xor_b32_e32 v1, v1, v0
	s_delay_alu instid0(VALU_DEP_1) | instskip(NEXT) | instid1(VALU_DEP_1)
	v_and_b32_e32 v1, 0xff0000, v1
	v_cmp_eq_u32_e32 vcc_lo, 0, v1
	s_cbranch_vccnz .LBB15_6
; %bb.5:                                ;   in Loop: Header=BB15_3 Depth=1
	s_wait_storecnt 0x0
	s_barrier_signal -1
	s_barrier_wait -1
	ds_load_b32 v0, v0
.LBB15_6:                               ;   in Loop: Header=BB15_3 Depth=1
	s_wait_dscnt 0x0
	v_lshrrev_b32_e32 v0, 11, v0
	s_mov_b32 s46, exec_lo
	s_delay_alu instid0(VALU_DEP_1) | instskip(NEXT) | instid1(VALU_DEP_1)
	v_and_b32_e32 v1, 0x1fe0, v0
	v_cmpx_lt_u32_e64 v41, v1
	s_cbranch_execz .LBB15_2
; %bb.7:                                ;   in Loop: Header=BB15_3 Depth=1
	s_mov_b64 s[0:1], src_shared_base
	v_dual_mov_b32 v31, v40 :: v_dual_mov_b32 v0, v41
	v_mov_b32_e32 v3, s1
	s_mov_b64 s[8:9], s[40:41]
	s_mov_b32 s12, s42
	s_swap_pc_i64 s[30:31], s[44:45]
	s_branch .LBB15_2
.LBB15_8:
	s_clause 0x1
	scratch_load_b32 v41, off, s33
	scratch_load_b32 v40, off, s33 offset:4
	v_readlane_b32 s30, v42, 0
	v_readlane_b32 s31, v42, 1
	s_mov_b32 s32, s33
	s_wait_xcnt 0x0
	s_or_saveexec_b32 s0, -1
	scratch_load_b32 v42, off, s33 offset:8 ; 4-byte Folded Reload
	s_wait_xcnt 0x0
	s_mov_b32 exec_lo, s0
	s_mov_b32 s33, s47
	s_wait_loadcnt 0x0
	s_set_pc_i64 s[30:31]
.Lfunc_end15:
	.size	_Z42ncclDevFunc_AllGather_RING_LL_Sum_i8_0_0_4v, .Lfunc_end15-_Z42ncclDevFunc_AllGather_RING_LL_Sum_i8_0_0_4v
                                        ; -- End function
	.set .L_Z42ncclDevFunc_AllGather_RING_LL_Sum_i8_0_0_4v.num_vgpr, max(43, .L_ZN12_GLOBAL__N_17runRingIa7FuncSumIaE7ProtoLLLi0ELi4ELi0ELb0EEEviiP15ncclDevWorkColl.num_vgpr)
	.set .L_Z42ncclDevFunc_AllGather_RING_LL_Sum_i8_0_0_4v.num_agpr, max(0, .L_ZN12_GLOBAL__N_17runRingIa7FuncSumIaE7ProtoLLLi0ELi4ELi0ELb0EEEviiP15ncclDevWorkColl.num_agpr)
	.set .L_Z42ncclDevFunc_AllGather_RING_LL_Sum_i8_0_0_4v.numbered_sgpr, max(48, .L_ZN12_GLOBAL__N_17runRingIa7FuncSumIaE7ProtoLLLi0ELi4ELi0ELb0EEEviiP15ncclDevWorkColl.numbered_sgpr)
	.set .L_Z42ncclDevFunc_AllGather_RING_LL_Sum_i8_0_0_4v.num_named_barrier, max(0, .L_ZN12_GLOBAL__N_17runRingIa7FuncSumIaE7ProtoLLLi0ELi4ELi0ELb0EEEviiP15ncclDevWorkColl.num_named_barrier)
	.set .L_Z42ncclDevFunc_AllGather_RING_LL_Sum_i8_0_0_4v.private_seg_size, 16+max(.L_ZN12_GLOBAL__N_17runRingIa7FuncSumIaE7ProtoLLLi0ELi4ELi0ELb0EEEviiP15ncclDevWorkColl.private_seg_size)
	.set .L_Z42ncclDevFunc_AllGather_RING_LL_Sum_i8_0_0_4v.uses_vcc, or(1, .L_ZN12_GLOBAL__N_17runRingIa7FuncSumIaE7ProtoLLLi0ELi4ELi0ELb0EEEviiP15ncclDevWorkColl.uses_vcc)
	.set .L_Z42ncclDevFunc_AllGather_RING_LL_Sum_i8_0_0_4v.uses_flat_scratch, or(1, .L_ZN12_GLOBAL__N_17runRingIa7FuncSumIaE7ProtoLLLi0ELi4ELi0ELb0EEEviiP15ncclDevWorkColl.uses_flat_scratch)
	.set .L_Z42ncclDevFunc_AllGather_RING_LL_Sum_i8_0_0_4v.has_dyn_sized_stack, or(0, .L_ZN12_GLOBAL__N_17runRingIa7FuncSumIaE7ProtoLLLi0ELi4ELi0ELb0EEEviiP15ncclDevWorkColl.has_dyn_sized_stack)
	.set .L_Z42ncclDevFunc_AllGather_RING_LL_Sum_i8_0_0_4v.has_recursion, or(1, .L_ZN12_GLOBAL__N_17runRingIa7FuncSumIaE7ProtoLLLi0ELi4ELi0ELb0EEEviiP15ncclDevWorkColl.has_recursion)
	.set .L_Z42ncclDevFunc_AllGather_RING_LL_Sum_i8_0_0_4v.has_indirect_call, or(0, .L_ZN12_GLOBAL__N_17runRingIa7FuncSumIaE7ProtoLLLi0ELi4ELi0ELb0EEEviiP15ncclDevWorkColl.has_indirect_call)
	.section	.AMDGPU.csdata,"",@progbits
; Function info:
; codeLenInByte = 436
; TotalNumSgprs: 50
; NumVgprs: 120
; ScratchSize: 84
; MemoryBound: 0
	.text
	.p2align	2                               ; -- Begin function _ZN12_GLOBAL__N_17runRingIa7FuncSumIaE11ProtoSimpleILi2ELi2ELi0ELi4ELi0ELi0EELi0ELi4ELi0ELb0EEEviiP15ncclDevWorkColl
	.type	_ZN12_GLOBAL__N_17runRingIa7FuncSumIaE11ProtoSimpleILi2ELi2ELi0ELi4ELi0ELi0EELi0ELi4ELi0ELb0EEEviiP15ncclDevWorkColl,@function
_ZN12_GLOBAL__N_17runRingIa7FuncSumIaE11ProtoSimpleILi2ELi2ELi0ELi4ELi0ELi0EELi0ELi4ELi0ELb0EEEviiP15ncclDevWorkColl: ; @_ZN12_GLOBAL__N_17runRingIa7FuncSumIaE11ProtoSimpleILi2ELi2ELi0ELi4ELi0ELi0EELi0ELi4ELi0ELb0EEEviiP15ncclDevWorkColl
; %bb.0:
	s_wait_loadcnt_dscnt 0x0
	s_wait_kmcnt 0x0
	s_mov_b32 s59, s33
	s_mov_b32 s33, s32
	s_or_saveexec_b32 s0, -1
	scratch_store_b32 off, v127, s33 offset:188 ; 4-byte Folded Spill
	s_wait_xcnt 0x0
	s_mov_b32 exec_lo, s0
	s_addk_co_i32 s32, 0xd0
	s_clause 0x2e
	scratch_store_b32 off, v40, s33 offset:184
	; meta instruction
	scratch_store_b32 off, v41, s33 offset:180
	; meta instruction
	;; [unrolled: 2-line block ×46, first 2 shown]
	scratch_store_b32 off, v126, s33
	v_writelane_b32 v127, s30, 0
	v_writelane_b32 v127, s31, 1
	s_trap 2
	s_clause 0x2
	flat_load_b32 v11, v[2:3]
	flat_load_b128 v[4:7], v[2:3] offset:72
	flat_load_b64 v[12:13], v[2:3] offset:88
	ds_load_b32 v9, v0
	ds_load_b64 v[18:19], v0
	s_mov_b32 s0, exec_lo
                                        ; implicit-def: $vgpr38_vgpr39
                                        ; implicit-def: $vgpr16_vgpr17
	s_wait_dscnt 0x1
	v_readfirstlane_b32 s18, v9
	s_wait_loadcnt 0x2
	v_bfe_u32 v10, v11, 8, 8
	v_bitop3_b32 v8, v11, 0xff, v11 bitop3:0x3f
	v_and_b32_e32 v11, 0xff, v11
	s_delay_alu instid0(VALU_DEP_2) | instskip(NEXT) | instid1(VALU_DEP_1)
	v_add_nc_u32_e32 v14, v10, v8
	v_ashrrev_i32_e32 v15, 31, v14
	s_wait_loadcnt 0x1
	s_delay_alu instid0(VALU_DEP_1)
	v_mul_u64_e32 v[14:15], v[6:7], v[14:15]
	s_wait_xcnt 0x0
	v_cmpx_ne_u32_e64 v9, v11
	s_xor_b32 s0, exec_lo, s0
	s_cbranch_execz .LBB16_6
; %bb.1:
	s_mov_b32 s1, exec_lo
                                        ; implicit-def: $vgpr38_vgpr39
                                        ; implicit-def: $vgpr16_vgpr17
	v_cmpx_ne_u32_e64 v9, v10
	s_xor_b32 s1, exec_lo, s1
	s_cbranch_execz .LBB16_3
; %bb.2:
	flat_load_b64 v[10:11], v[2:3] offset:96
	v_add_nc_u32_e32 v8, v9, v8
	s_delay_alu instid0(VALU_DEP_1) | instskip(NEXT) | instid1(VALU_DEP_1)
	v_mad_nc_u64_u32 v[16:17], v6, v8, v[4:5]
	v_mad_u32 v9, v7, v8, v17
	v_ashrrev_i32_e32 v8, 31, v8
	s_delay_alu instid0(VALU_DEP_1)
	v_mad_u32 v17, v6, v8, v9
	s_wait_loadcnt_dscnt 0x0
	v_lshrrev_b64 v[38:39], 21, v[10:11]
.LBB16_3:
	s_wait_xcnt 0x0
	s_and_not1_saveexec_b32 s1, s1
	s_cbranch_execz .LBB16_5
; %bb.4:
	flat_load_b32 v6, v[2:3] offset:100
	v_add_nc_u64_e32 v[16:17], v[14:15], v[4:5]
	s_wait_loadcnt_dscnt 0x0
	v_lshrrev_b32_e32 v38, 10, v6
	v_mov_b64_e32 v[6:7], v[12:13]
.LBB16_5:
	s_wait_xcnt 0x0
	s_or_b32 exec_lo, exec_lo, s1
.LBB16_6:
	s_and_not1_saveexec_b32 s0, s0
	s_cbranch_execz .LBB16_8
; %bb.7:
	flat_load_b64 v[38:39], v[2:3] offset:96
	v_mov_b64_e32 v[16:17], 0
	v_mov_b64_e32 v[6:7], v[4:5]
.LBB16_8:
	s_wait_xcnt 0x0
	s_or_b32 exec_lo, exec_lo, s0
	flat_load_b128 v[8:11], v[2:3] offset:16
	s_wait_loadcnt 0x1
	v_add_nc_u64_e32 v[4:5], v[12:13], v[4:5]
	s_mov_b32 s0, exec_lo
	s_delay_alu instid0(VALU_DEP_1)
	v_add_nc_u64_e32 v[20:21], v[4:5], v[14:15]
	s_wait_xcnt 0x0
	v_cmpx_ge_i32_e64 v0, v1
	s_xor_b32 s0, exec_lo, s0
	s_cbranch_execz .LBB16_33
; %bb.9:
	s_wait_dscnt 0x1
	flat_load_b32 v2, v[18:19]
	s_mov_b32 s1, exec_lo
	s_wait_loadcnt_dscnt 0x0
	v_ashrrev_i32_e32 v3, 31, v2
	s_delay_alu instid0(VALU_DEP_1) | instskip(NEXT) | instid1(VALU_DEP_1)
	v_mul_u64_e32 v[2:3], v[20:21], v[2:3]
	v_add_nc_u64_e32 v[4:5], v[8:9], v[2:3]
	s_wait_xcnt 0x0
	s_delay_alu instid0(VALU_DEP_1)
	v_cmpx_ne_u64_e64 v[10:11], v[4:5]
	s_cbranch_execz .LBB16_32
; %bb.10:
	v_sub_nc_u32_e32 v18, v0, v1
	v_add_nc_u64_e32 v[8:9], v[8:9], v[16:17]
	s_mov_b32 s2, 0
	s_mov_b32 s3, 0
	s_mov_b32 s4, exec_lo
	v_ashrrev_i16 v0, 15, v18
	s_delay_alu instid0(VALU_DEP_2) | instskip(NEXT) | instid1(VALU_DEP_2)
	v_add_nc_u64_e32 v[2:3], v[8:9], v[2:3]
	v_lshrrev_b16 v0, 11, v0
	s_delay_alu instid0(VALU_DEP_1) | instskip(NEXT) | instid1(VALU_DEP_1)
	v_add_nc_u16 v5, v18, v0
	v_and_b32_e32 v0, 0xffffffe0, v5
	s_delay_alu instid0(VALU_DEP_1) | instskip(SKIP_1) | instid1(VALU_DEP_2)
	v_sub_nc_u16 v4, v18, v0
	v_add_nc_u64_e32 v[0:1], v[10:11], v[16:17]
	v_cmpx_gt_i16_e32 1, v4
; %bb.11:
	s_delay_alu instid0(VALU_DEP_2) | instskip(NEXT) | instid1(VALU_DEP_1)
	v_bitop3_b32 v8, v0, 15, v2 bitop3:0xc8
	v_cmp_ne_u32_e32 vcc_lo, 0, v8
	s_and_b32 s3, vcc_lo, exec_lo
; %bb.12:
	s_or_b32 exec_lo, exec_lo, s4
	v_cndmask_b32_e64 v8, 0, 1, s3
	v_ashrrev_i16 v20, 5, v5
	s_delay_alu instid0(VALU_DEP_2)
	v_cmp_ne_u32_e32 vcc_lo, 0, v8
	s_cbranch_vccz .LBB16_14
; %bb.13:
	v_mov_b64_e32 v[10:11], 0
	s_mov_b32 s5, -1
	s_mov_b32 s3, 0
                                        ; implicit-def: $vgpr8_vgpr9
                                        ; implicit-def: $vgpr4_vgpr5
                                        ; implicit-def: $vgpr15
	s_and_saveexec_b32 s4, s5
	s_cbranch_execnz .LBB16_23
	s_branch .LBB16_26
.LBB16_14:
	v_dual_ashrrev_i32 v5, 31, v7 :: v_dual_mov_b32 v9, 0
	s_delay_alu instid0(VALU_DEP_3) | instskip(SKIP_2) | instid1(VALU_DEP_2)
	v_bfe_i32 v10, v20, 0, 16
	s_mov_b32 s5, 0
	s_mov_b32 s3, -1
	v_lshrrev_b32_e32 v8, 20, v5
                                        ; implicit-def: $vgpr18
	s_delay_alu instid0(VALU_DEP_2) | instskip(NEXT) | instid1(VALU_DEP_2)
	v_ashrrev_i32_e32 v11, 31, v10
	v_add_nc_u64_e32 v[8:9], v[6:7], v[8:9]
	s_delay_alu instid0(VALU_DEP_1) | instskip(NEXT) | instid1(VALU_DEP_1)
	v_ashrrev_i64 v[12:13], 12, v[8:9]
                                        ; implicit-def: $vgpr8_vgpr9
	v_sub_nc_u64_e32 v[14:15], v[12:13], v[10:11]
	v_mov_b64_e32 v[10:11], 0
	s_delay_alu instid0(VALU_DEP_2)
	v_cmp_gt_i64_e32 vcc_lo, 1, v[14:15]
	v_bfe_i32 v15, v4, 0, 16
                                        ; implicit-def: $vgpr4_vgpr5
	s_and_saveexec_b32 s4, vcc_lo
	s_cbranch_execz .LBB16_22
; %bb.15:
	v_lshlrev_b64_e32 v[4:5], 12, v[12:13]
	v_mov_b64_e32 v[10:11], 0
	s_mov_b32 s6, 0
	s_mov_b32 s2, exec_lo
                                        ; implicit-def: $vgpr8_vgpr9
                                        ; implicit-def: $vgpr12_vgpr13
                                        ; implicit-def: $vgpr18
	s_delay_alu instid0(VALU_DEP_2)
	v_cmpx_ne_u64_e64 v[6:7], v[4:5]
	s_cbranch_execz .LBB16_21
; %bb.16:
	v_sub_nc_u64_e32 v[18:19], v[6:7], v[4:5]
	s_mov_b32 s3, exec_lo
	s_delay_alu instid0(VALU_DEP_1) | instskip(NEXT) | instid1(VALU_DEP_1)
	v_dual_mov_b32 v9, 0 :: v_dual_ashrrev_i32 v7, 31, v19
	v_lshrrev_b32_e32 v8, 23, v7
	s_delay_alu instid0(VALU_DEP_1) | instskip(NEXT) | instid1(VALU_DEP_1)
	v_add_nc_u64_e32 v[10:11], v[18:19], v[8:9]
	v_ashrrev_i64 v[16:17], 9, v[10:11]
	v_and_b32_e32 v10, 0xfffffe00, v10
	s_delay_alu instid0(VALU_DEP_1) | instskip(SKIP_1) | instid1(VALU_DEP_2)
	v_sub_nc_u64_e32 v[12:13], v[18:19], v[10:11]
	v_add_nc_u64_e32 v[10:11], v[10:11], v[4:5]
	v_cmpx_lt_i64_e32 15, v[12:13]
; %bb.17:
	v_and_b32_e32 v8, 15, v6
	v_add_nc_u64_e32 v[16:17], 1, v[16:17]
	s_delay_alu instid0(VALU_DEP_2) | instskip(SKIP_1) | instid1(VALU_DEP_2)
	v_sub_nc_u64_e32 v[6:7], v[12:13], v[8:9]
	v_mov_b64_e32 v[12:13], v[8:9]
	v_add_nc_u64_e32 v[10:11], v[6:7], v[10:11]
; %bb.18:
	s_or_b32 exec_lo, exec_lo, s3
	v_lshlrev_b32_e32 v6, 5, v14
	s_mov_b32 s3, 0
	s_mov_b32 s5, -1
	s_delay_alu instid0(VALU_DEP_1) | instskip(NEXT) | instid1(VALU_DEP_1)
	v_sub_nc_u32_e32 v6, v15, v6
	v_ashrrev_i32_e32 v7, 31, v6
	s_delay_alu instid0(VALU_DEP_1) | instskip(NEXT) | instid1(VALU_DEP_1)
	v_lshrrev_b32_e32 v7, 27, v7
	v_add_nc_u32_e32 v7, v6, v7
	s_delay_alu instid0(VALU_DEP_1) | instskip(NEXT) | instid1(VALU_DEP_1)
	v_and_b32_e32 v8, 0xffffffe0, v7
	v_dual_ashrrev_i32 v7, 5, v7 :: v_dual_sub_nc_u32 v6, v6, v8
	s_delay_alu instid0(VALU_DEP_1) | instskip(NEXT) | instid1(VALU_DEP_1)
	v_lshlrev_b32_e32 v8, 4, v6
	v_lshl_add_u32 v8, v7, 9, v8
	s_delay_alu instid0(VALU_DEP_1) | instskip(NEXT) | instid1(VALU_DEP_1)
	v_ashrrev_i32_e32 v9, 31, v8
	v_sub_nc_u64_e32 v[18:19], v[18:19], v[8:9]
	s_delay_alu instid0(VALU_DEP_1)
	v_cmp_gt_i64_e32 vcc_lo, 16, v[18:19]
                                        ; implicit-def: $vgpr18
	s_and_saveexec_b32 s6, vcc_lo
; %bb.19:
	v_sub_nc_u32_e32 v7, v7, v16
	v_cmp_ne_u64_e32 vcc_lo, 0, v[12:13]
	s_xor_b32 s5, exec_lo, -1
	s_delay_alu instid0(VALU_DEP_2)
	v_lshl_add_u32 v18, v7, 5, v6
	s_and_b32 s3, vcc_lo, exec_lo
; %bb.20:
	s_or_b32 exec_lo, exec_lo, s6
	s_delay_alu instid0(SALU_CYCLE_1)
	s_and_b32 s6, s5, exec_lo
	s_and_b32 s5, s3, exec_lo
.LBB16_21:
	s_or_b32 exec_lo, exec_lo, s2
	v_mov_b64_e32 v[6:7], v[12:13]
	s_xor_b32 s3, exec_lo, -1
	s_and_b32 s2, s6, exec_lo
	s_and_b32 s5, s5, exec_lo
.LBB16_22:
	s_or_b32 exec_lo, exec_lo, s4
	s_and_saveexec_b32 s4, s5
	s_cbranch_execz .LBB16_26
.LBB16_23:
	v_dual_ashrrev_i32 v12, 31, v18 :: v_dual_ashrrev_i32 v13, 31, v7
	s_delay_alu instid0(VALU_DEP_1) | instskip(NEXT) | instid1(VALU_DEP_1)
	v_dual_lshrrev_b32 v14, 27, v12 :: v_dual_lshrrev_b32 v12, 22, v13
	v_dual_mov_b32 v13, 0 :: v_dual_add_nc_u32 v14, v18, v14
	s_delay_alu instid0(VALU_DEP_1) | instskip(NEXT) | instid1(VALU_DEP_2)
	v_add_nc_u64_e32 v[12:13], v[6:7], v[12:13]
	v_ashrrev_i32_e32 v6, 5, v14
	s_delay_alu instid0(VALU_DEP_2) | instskip(NEXT) | instid1(VALU_DEP_2)
	v_ashrrev_i64 v[12:13], 10, v[12:13]
	v_ashrrev_i32_e32 v7, 31, v6
	s_delay_alu instid0(VALU_DEP_1)
	v_cmp_gt_i64_e32 vcc_lo, v[12:13], v[6:7]
	s_and_b32 exec_lo, exec_lo, vcc_lo
	s_cbranch_execz .LBB16_26
; %bb.24:
	v_lshlrev_b32_e32 v7, 5, v6
	s_mov_b32 vcc_lo, exec_lo
	s_delay_alu instid0(VALU_DEP_1) | instskip(NEXT) | instid1(VALU_DEP_1)
	v_sub_nc_u32_e32 v7, v18, v7
	v_lshl_add_u32 v6, v6, 10, v7
	s_delay_alu instid0(VALU_DEP_1) | instskip(NEXT) | instid1(VALU_DEP_1)
	v_ashrrev_i32_e32 v7, 31, v6
	v_add_nc_u64_e32 v[10:11], v[10:11], v[6:7]
	s_delay_alu instid0(VALU_DEP_1)
	v_add_nc_u64_e32 v[6:7], v[10:11], v[2:3]
	v_add_nc_u64_e32 v[10:11], v[10:11], v[0:1]
.LBB16_25:                              ; =>This Inner Loop Header: Depth=1
	s_clause 0x1f
	flat_load_u8 v12, v[10:11] th:TH_LOAD_NT
	flat_load_u8 v13, v[10:11] offset:32 th:TH_LOAD_NT
	flat_load_u8 v14, v[10:11] offset:64 th:TH_LOAD_NT
	;; [unrolled: 1-line block ×31, first 2 shown]
	s_wait_loadcnt_dscnt 0x1f1f
	flat_store_b8 v[6:7], v12 th:TH_STORE_NT
	s_wait_loadcnt_dscnt 0x1e1f
	flat_store_b8 v[6:7], v13 offset:32 th:TH_STORE_NT
	s_wait_loadcnt_dscnt 0x1d1f
	flat_store_b8 v[6:7], v14 offset:64 th:TH_STORE_NT
	;; [unrolled: 2-line block ×31, first 2 shown]
	s_cbranch_vccnz .LBB16_25
.LBB16_26:
	s_wait_xcnt 0x0
	s_or_b32 exec_lo, exec_lo, s4
	s_and_saveexec_b32 s4, s2
	s_cbranch_execz .LBB16_29
; %bb.27:
	v_add_nc_u64_e32 v[6:7], v[4:5], v[8:9]
	s_mov_b32 vcc_lo, 0
	s_delay_alu instid0(VALU_DEP_1)
	v_add_nc_u64_e32 v[4:5], v[6:7], v[2:3]
	v_add_nc_u64_e32 v[6:7], v[6:7], v[0:1]
.LBB16_28:                              ; =>This Inner Loop Header: Depth=1
	global_load_b128 v[8:11], v[6:7], off th:TH_LOAD_NT
	s_wait_loadcnt 0x0
	global_store_b128 v[4:5], v[8:11], off th:TH_STORE_NT
	s_cbranch_vccz .LBB16_28
.LBB16_29:
	s_wait_xcnt 0x0
	s_or_b32 exec_lo, exec_lo, s4
	s_and_saveexec_b32 s2, s3
	s_delay_alu instid0(SALU_CYCLE_1)
	s_xor_b32 s2, exec_lo, s2
	s_cbranch_execz .LBB16_32
; %bb.30:
	v_bfe_i32 v4, v20, 0, 16
	v_lshlrev_b32_e32 v5, 4, v15
	s_mov_b32 vcc_lo, 0
	s_delay_alu instid0(VALU_DEP_1) | instskip(NEXT) | instid1(VALU_DEP_1)
	v_lshl_add_u32 v4, v4, 12, v5
	v_ashrrev_i32_e32 v5, 31, v4
	s_delay_alu instid0(VALU_DEP_1)
	v_add_nc_u64_e32 v[2:3], v[2:3], v[4:5]
	v_add_nc_u64_e32 v[0:1], v[0:1], v[4:5]
.LBB16_31:                              ; =>This Inner Loop Header: Depth=1
	s_clause 0x7
	global_load_b128 v[4:7], v[0:1], off th:TH_LOAD_NT
	global_load_b128 v[8:11], v[0:1], off offset:512 th:TH_LOAD_NT
	global_load_b128 v[12:15], v[0:1], off offset:1024 th:TH_LOAD_NT
	;; [unrolled: 1-line block ×7, first 2 shown]
	s_wait_loadcnt 0x7
	global_store_b128 v[2:3], v[4:7], off th:TH_STORE_NT
	s_wait_loadcnt 0x6
	global_store_b128 v[2:3], v[8:11], off offset:512 th:TH_STORE_NT
	s_wait_loadcnt 0x5
	global_store_b128 v[2:3], v[12:15], off offset:1024 th:TH_STORE_NT
	;; [unrolled: 2-line block ×7, first 2 shown]
	s_cbranch_vccz .LBB16_31
.LBB16_32:
	s_wait_xcnt 0x0
	s_or_b32 exec_lo, exec_lo, s1
                                        ; implicit-def: $vgpr6_vgpr7
                                        ; implicit-def: $vgpr16_vgpr17
                                        ; implicit-def: $vgpr38_vgpr39
                                        ; implicit-def: $vgpr20_vgpr21
                                        ; implicit-def: $vgpr0
                                        ; implicit-def: $vgpr1
                                        ; implicit-def: $vgpr18_vgpr19
                                        ; implicit-def: $vgpr31
                                        ; implicit-def: $vgpr10_vgpr11
                                        ; implicit-def: $vgpr2_vgpr3
.LBB16_33:
	s_and_not1_saveexec_b32 s21, s0
	s_cbranch_execz .LBB16_1048
; %bb.34:
	s_trap 2
	ds_load_b64 v[4:5], v0
	s_mov_b32 s1, 0
	s_mov_b32 s2, exec_lo
	s_wait_dscnt 0x0
	v_cmp_ne_u32_e32 vcc_lo, -1, v4
	v_cndmask_b32_e64 v48, 0, 1, vcc_lo
	v_cmp_ne_u32_e32 vcc_lo, -1, v5
	s_delay_alu instid0(VALU_DEP_2) | instskip(NEXT) | instid1(VALU_DEP_1)
	v_add_co_ci_u32_e64 v14, null, 0, v48, vcc_lo
	v_lshlrev_b32_e32 v4, 1, v14
	s_delay_alu instid0(VALU_DEP_1)
	v_cmpx_le_u32_e64 v4, v1
	s_xor_b32 s19, exec_lo, s2
	s_cbranch_execz .LBB16_1045
; %bb.35:
	s_clause 0x2
	flat_load_b64 v[4:5], v[2:3] offset:104
	flat_load_u16 v13, v[2:3] offset:8
	flat_load_b32 v12, v[2:3] offset:4
	s_trap 2
	s_load_b32 s0, s[8:9], 0x0
	s_bfe_u32 s2, ttmp6, 0x4000c
	s_and_b32 s3, ttmp6, 15
	s_add_co_i32 s2, s2, 1
	s_getreg_b32 s4, hwreg(HW_REG_IB_STS2, 6, 4)
	s_mul_i32 s2, ttmp9, s2
	v_dual_mov_b32 v15, 0 :: v_dual_mov_b32 v30, 4
	s_add_co_i32 s3, s3, s2
	s_cmp_eq_u32 s4, 0
	s_cselect_b32 s2, ttmp9, s3
	s_wait_kmcnt 0x0
	s_cmp_lt_u32 s2, s0
	s_cselect_b32 s0, 12, 18
	s_delay_alu instid0(SALU_CYCLE_1)
	s_add_nc_u64 s[0:1], s[8:9], s[0:1]
	global_load_u16 v29, v15, s[0:1]
	s_wait_xcnt 0x0
	ds_load_b32 v15, v0
	s_mov_b32 s1, exec_lo
	s_wait_dscnt 0x0
	v_readfirstlane_b32 s5, v15
	v_cmpx_ge_i32_e64 v0, v48
	s_cbranch_execz .LBB16_45
; %bb.36:
	v_cmp_ge_u32_e64 s0, v0, v14
                                        ; implicit-def: $vgpr30
	s_and_saveexec_b32 s2, s0
	s_delay_alu instid0(SALU_CYCLE_1)
	s_xor_b32 s0, exec_lo, s2
	s_cbranch_execz .LBB16_42
; %bb.37:
	v_cndmask_b32_e64 v15, 0, 1, vcc_lo
	s_mov_b32 s2, exec_lo
	s_delay_alu instid0(VALU_DEP_1) | instskip(NEXT) | instid1(VALU_DEP_1)
	v_sub_nc_u32_e32 v15, v1, v15
	v_cmpx_ge_u32_e64 v0, v15
	s_xor_b32 s2, exec_lo, s2
; %bb.38:
                                        ; implicit-def: $vgpr14
; %bb.39:
	s_delay_alu instid0(SALU_CYCLE_1)
	s_or_saveexec_b32 s2, s2
	v_mov_b32_e32 v30, 16
	s_xor_b32 exec_lo, exec_lo, s2
; %bb.40:
	v_sub_nc_u32_e32 v14, v1, v14
	s_delay_alu instid0(VALU_DEP_1)
	v_cmp_lt_i32_e32 vcc_lo, v0, v14
	v_cndmask_b32_e64 v30, 32, 0, vcc_lo
; %bb.41:
	s_or_b32 exec_lo, exec_lo, s2
.LBB16_42:
	s_and_not1_saveexec_b32 s0, s0
; %bb.43:
	v_mov_b32_e32 v30, 8
; %bb.44:
	s_or_b32 exec_lo, exec_lo, s0
.LBB16_45:
	s_delay_alu instid0(SALU_CYCLE_1) | instskip(NEXT) | instid1(VALU_DEP_1)
	s_or_b32 exec_lo, exec_lo, s1
	v_dual_mov_b32 v39, -1 :: v_dual_bitop2_b32 v14, 36, v30 bitop3:0x40
	s_delay_alu instid0(VALU_DEP_1)
	v_cmp_ne_u32_e32 vcc_lo, 0, v14
	s_and_saveexec_b32 s0, vcc_lo
	s_cbranch_execz .LBB16_47
; %bb.46:
	s_trap 2
	ds_load_b32 v39, v0
.LBB16_47:
	s_or_b32 exec_lo, exec_lo, s0
	v_and_b32_e32 v14, 24, v30
	s_mov_b32 s1, exec_lo
	s_delay_alu instid0(VALU_DEP_1)
	v_cmpx_ne_u32_e32 0, v14
	s_cbranch_execz .LBB16_49
; %bb.48:
	s_trap 2
	s_wait_dscnt 0x0
	ds_load_b32 v39, v0
.LBB16_49:
	s_or_b32 exec_lo, exec_lo, s1
	s_wait_loadcnt 0x1
	v_lshrrev_b64 v[14:15], 31, v[12:13]
	v_mov_b64_e32 v[124:125], 0
	v_mov_b64_e32 v[12:13], 0
                                        ; implicit-def: $vgpr78_vgpr79
                                        ; implicit-def: $vgpr28
                                        ; implicit-def: $vgpr98_vgpr99
                                        ; implicit-def: $vgpr32_vgpr33
                                        ; implicit-def: $vgpr36_vgpr37
                                        ; implicit-def: $vgpr26_vgpr27
	s_delay_alu instid0(VALU_DEP_3)
	v_and_b32_e32 v49, 3, v14
	s_and_saveexec_b32 s0, vcc_lo
	s_cbranch_execz .LBB16_59
; %bb.50:
	s_trap 2
	ds_load_b64 v[12:13], v0
	v_and_b32_e32 v14, 0xffff, v49
	s_mov_b32 s1, exec_lo
                                        ; implicit-def: $vgpr78_vgpr79
	s_wait_dscnt 0x0
	v_readfirstlane_b32 s2, v12
	v_readfirstlane_b32 s3, v13
	flat_load_b64 v[12:13], v39, s[2:3] scale_offset
	s_wait_loadcnt_dscnt 0x0
	v_mad_nc_u64_u32 v[14:15], 0xa8, v14, v[12:13]
	flat_load_b32 v12, v[14:15] offset:640
	s_wait_loadcnt_dscnt 0x0
	v_cmpx_eq_u32_e32 1, v12
	s_cbranch_execz .LBB16_52
; %bb.51:
	flat_load_b64 v[78:79], v[14:15] offset:648
	v_or_b32_e32 v30, 0x2000, v30
	s_wait_loadcnt_dscnt 0x0
	flat_load_b64 v[12:13], v[78:79]
	s_trap 2
	s_wait_loadcnt_dscnt 0x0
	ds_store_b64 v0, v[12:13]
	flat_load_b64 v[12:13], v[78:79] offset:8
	s_wait_loadcnt_dscnt 0x0
	ds_store_b64 v0, v[12:13]
	flat_load_b64 v[12:13], v[78:79] offset:16
	s_wait_loadcnt_dscnt 0x0
	ds_store_b64 v0, v[12:13]
.LBB16_52:
	s_wait_xcnt 0x0
	s_or_b32 exec_lo, exec_lo, s1
	flat_load_b64 v[12:13], v[14:15] offset:608
	s_mov_b32 s1, exec_lo
                                        ; implicit-def: $vgpr26_vgpr27
	s_wait_loadcnt_dscnt 0x0
	v_add_nc_u64_e32 v[98:99], 3, v[12:13]
	v_and_b32_e32 v12, 32, v30
	s_delay_alu instid0(VALU_DEP_2) | instskip(SKIP_1) | instid1(VALU_DEP_2)
	v_and_b32_e32 v98, -4, v98
	s_wait_xcnt 0x0
	v_cmpx_ne_u32_e32 0, v12
	s_cbranch_execz .LBB16_54
; %bb.53:
	flat_load_b64 v[26:27], v[14:15] offset:560
	global_wb scope:SCOPE_SYS
	s_wait_storecnt 0x0
	s_wait_xcnt 0x0
	s_wait_loadcnt_dscnt 0x0
	flat_store_b64 v[26:27], v[98:99] scope:SCOPE_SYS
.LBB16_54:
	s_wait_xcnt 0x0
	s_or_b32 exec_lo, exec_lo, s1
	v_add_nc_u64_e32 v[124:125], 0x1f8, v[14:15]
	v_mov_b64_e32 v[12:13], 0
	v_and_b32_e32 v22, 4, v30
	s_mov_b32 s1, exec_lo
                                        ; implicit-def: $vgpr28
                                        ; implicit-def: $vgpr32_vgpr33
                                        ; implicit-def: $vgpr36_vgpr37
	s_delay_alu instid0(VALU_DEP_1)
	v_cmpx_ne_u32_e32 0, v22
	s_cbranch_execz .LBB16_58
; %bb.55:
	v_and_b32_e32 v12, 0x800, v30
	s_mov_b32 s2, exec_lo
	s_delay_alu instid0(VALU_DEP_1)
	v_cmpx_eq_u32_e32 0, v12
	s_cbranch_execz .LBB16_57
; %bb.56:
	s_trap 2
	ds_store_b64 v0, v[124:125]
.LBB16_57:
	s_or_b32 exec_lo, exec_lo, s2
	flat_load_b64 v[26:27], v[14:15] offset:552
	s_wait_loadcnt_dscnt 0x0
	flat_load_b64 v[36:37], v[26:27] scope:SCOPE_SYS
	s_clause 0x2
	flat_load_b64 v[12:13], v[14:15] offset:600
	flat_load_b32 v28, v[14:15] offset:576
	flat_load_b64 v[32:33], v[14:15] offset:520
	s_wait_xcnt 0x0
	v_or_b32_e32 v14, 0x100, v30
	s_wait_loadcnt_dscnt 0x202
	v_cmp_eq_u64_e32 vcc_lo, 0, v[12:13]
	s_delay_alu instid0(VALU_DEP_2)
	v_cndmask_b32_e32 v30, v14, v30, vcc_lo
.LBB16_58:
	s_or_b32 exec_lo, exec_lo, s1
.LBB16_59:
	s_delay_alu instid0(SALU_CYCLE_1) | instskip(NEXT) | instid1(VALU_DEP_1)
	s_or_b32 exec_lo, exec_lo, s0
	v_and_b32_e32 v14, 24, v30
	s_mov_b32 s0, exec_lo
                                        ; implicit-def: $vgpr34_vgpr35
	s_delay_alu instid0(VALU_DEP_1)
	v_cmpx_ne_u32_e32 0, v14
	s_cbranch_execz .LBB16_67
; %bb.60:
	s_trap 2
	ds_load_b64 v[12:13], v0
	v_and_b32_e32 v14, 0xffff, v49
	v_or_b32_e32 v22, 0x100, v30
	s_mov_b32 s1, exec_lo
                                        ; implicit-def: $vgpr34_vgpr35
	s_wait_dscnt 0x0
	v_readfirstlane_b32 s2, v12
	v_readfirstlane_b32 s3, v13
	flat_load_b64 v[12:13], v39, s[2:3] scale_offset
	s_wait_loadcnt_dscnt 0x0
	v_mad_nc_u64_u32 v[124:125], 0xa8, v14, v[12:13]
	flat_load_b128 v[12:15], v[124:125] offset:96
	s_wait_loadcnt_dscnt 0x0
	v_cmp_eq_u64_e32 vcc_lo, 0, v[12:13]
	v_cndmask_b32_e32 v30, v22, v30, vcc_lo
	s_delay_alu instid0(VALU_DEP_1) | instskip(SKIP_1) | instid1(VALU_DEP_1)
	v_and_b32_e32 v22, 16, v30
	s_wait_xcnt 0x0
	v_cmpx_ne_u32_e32 0, v22
	s_cbranch_execz .LBB16_62
; %bb.61:
	s_clause 0x2
	flat_load_b64 v[26:27], v[124:125] offset:48
	flat_load_b64 v[34:35], v[124:125] offset:120
	;; [unrolled: 1-line block ×3, first 2 shown]
.LBB16_62:
	s_wait_xcnt 0x0
	s_or_b32 exec_lo, exec_lo, s1
	v_add_nc_u64_e32 v[98:99], 3, v[14:15]
	v_and_b32_e32 v14, 8, v30
	s_mov_b32 s1, exec_lo
	s_delay_alu instid0(VALU_DEP_2) | instskip(NEXT) | instid1(VALU_DEP_2)
	v_and_b32_e32 v98, -4, v98
	v_cmpx_ne_u32_e32 0, v14
	s_cbranch_execz .LBB16_66
; %bb.63:
	v_and_b32_e32 v14, 0x800, v30
	s_mov_b32 s2, exec_lo
	s_delay_alu instid0(VALU_DEP_1)
	v_cmpx_eq_u32_e32 0, v14
	s_cbranch_execz .LBB16_65
; %bb.64:
	s_trap 2
	ds_store_b64 v0, v[124:125]
.LBB16_65:
	s_or_b32 exec_lo, exec_lo, s2
	s_wait_loadcnt_dscnt 0x202
	flat_load_b64 v[26:27], v[124:125] offset:56
	s_wait_loadcnt_dscnt 0x0
	flat_load_b64 v[36:37], v[26:27] scope:SCOPE_SYS
	s_clause 0x1
	flat_load_b32 v28, v[124:125] offset:72
	flat_load_b64 v[32:33], v[124:125] offset:16
.LBB16_66:
	s_wait_xcnt 0x0
	s_or_b32 exec_lo, exec_lo, s1
.LBB16_67:
	s_delay_alu instid0(SALU_CYCLE_1)
	s_or_b32 exec_lo, exec_lo, s0
	v_cmp_eq_u32_e64 s0, 0, v0
	s_and_saveexec_b32 s1, s0
	s_cbranch_execz .LBB16_69
; %bb.68:
	flat_load_b64 v[14:15], v[2:3] offset:32
	v_dual_mov_b32 v22, v10 :: v_dual_mov_b32 v23, v11
	v_dual_mov_b32 v24, v8 :: v_dual_mov_b32 v25, v9
	ds_store_2addr_b64 v0, v[22:23], v[24:25] offset1:1
	s_trap 2
	s_wait_loadcnt_dscnt 0x1
	ds_store_b64 v0, v[14:15]
	ds_store_b64 v0, v[4:5]
.LBB16_69:
	s_wait_xcnt 0x0
	s_or_b32 exec_lo, exec_lo, s1
	v_mov_b64_e32 v[14:15], 0
	s_wait_loadcnt 0x0
	v_and_b32_e32 v56, 0xffff, v29
	s_mov_b32 s20, exec_lo
	v_cmpx_ne_u64_e32 0, v[6:7]
	s_cbranch_execz .LBB16_1011
; %bb.70:
	flat_load_b32 v22, v[2:3] offset:4
	s_wait_xcnt 0x0
	v_cvt_f64_u32_e32 v[2:3], 0
	v_dual_mov_b32 v49, 0 :: v_dual_lshlrev_b32 v4, 9, v38
	s_ashr_i32 s6, s5, 31
	s_wait_dscnt 0x2
	v_dual_ashrrev_i32 v29, 31, v28 :: v_dual_lshrrev_b32 v50, 5, v1
	s_delay_alu instid0(VALU_DEP_2)
	v_and_b32_e32 v38, 0x3ffffe00, v4
	s_lshr_b32 s6, s6, 25
	v_and_b32_e32 v57, 0x1fe0, v1
	s_add_co_i32 s6, s5, s6
	v_cmp_eq_u32_e32 vcc_lo, 32, v1
	v_cvt_f64_u32_e32 v[4:5], v38
	v_cmp_eq_u64_e64 s3, 0, v[34:35]
	v_subrev_nc_u32_e32 v68, 32, v57
	v_cmp_ne_u64_e64 s4, 0, v[34:35]
	v_mov_b64_e32 v[52:53], 0
	v_mov_b64_e32 v[14:15], 0
	v_cmp_ne_u32_e64 s1, 32, v1
	v_ashrrev_i32_e32 v69, 31, v68
	v_cmp_ne_u32_e64 s2, v1, v56
	s_wait_dscnt 0x1
	v_dual_mov_b32 v39, v49 :: v_dual_mov_b32 v51, v49
	v_dual_mov_b32 v55, v49 :: v_dual_lshlrev_b32 v54, 11, v50
	v_dual_lshlrev_b32 v66, 10, v50 :: v_dual_lshlrev_b32 v70, 12, v50
	s_ashr_i32 s23, s6, 7
	s_cmp_gt_i32 s18, 2
	s_mov_b32 s22, 0
	s_cselect_b32 s24, -1, 0
	s_add_co_i32 s25, s18, -2
	s_xor_b32 s27, vcc_lo, -1
	v_ldexp_f64 v[2:3], v[2:3], 32
	s_trap 2
	v_dual_mov_b32 v58, 1 :: v_dual_mov_b32 v67, v49
	s_delay_alu instid0(VALU_DEP_2) | instskip(SKIP_2) | instid1(VALU_DEP_2)
	v_dual_add_f64 v[2:3], v[2:3], v[4:5] :: v_dual_mov_b32 v71, v49
	v_dual_ashrrev_i32 v5, 31, v0 :: v_dual_bitop2_b32 v4, 31, v31 bitop3:0x40
	v_mov_b32_e32 v59, 0x88
	v_cmp_eq_u32_e64 s5, 0, v4
	s_delay_alu instid0(VALU_DEP_3) | instskip(NEXT) | instid1(VALU_DEP_1)
	v_dual_lshrrev_b32 v4, 27, v5 :: v_dual_lshlrev_b32 v60, 9, v50
	v_dual_max_num_f64 v[64:65], v[2:3], v[2:3] :: v_dual_add_nc_u32 v2, v0, v4
	s_delay_alu instid0(VALU_DEP_2) | instskip(NEXT) | instid1(VALU_DEP_2)
	v_add_nc_u32_e32 v80, 0xfffffe00, v60
	v_and_b32_e32 v3, 0xffffffe0, v2
	s_delay_alu instid0(VALU_DEP_1) | instskip(NEXT) | instid1(VALU_DEP_1)
	v_dual_ashrrev_i32 v61, 5, v2 :: v_dual_sub_nc_u32 v62, v0, v3
	v_lshlrev_b32_e32 v2, 11, v61
	s_delay_alu instid0(VALU_DEP_2) | instskip(NEXT) | instid1(VALU_DEP_2)
	v_cmp_gt_i32_e64 s6, 1, v62
	v_lshl_add_u32 v82, v62, 4, v2
	v_ashrrev_i32_e32 v81, 31, v80
	v_cmp_le_i32_e64 s7, v62, v48
	v_cmp_lt_i32_e64 s11, v62, v48
	s_delay_alu instid0(VALU_DEP_4) | instskip(NEXT) | instid1(VALU_DEP_4)
	v_add_nc_u32_e32 v96, v82, v2
	v_add_nc_u64_e32 v[86:87], 0x200, v[80:81]
	s_delay_alu instid0(VALU_DEP_2) | instskip(SKIP_3) | instid1(VALU_DEP_2)
	v_dual_ashrrev_i32 v83, 31, v82 :: v_dual_ashrrev_i32 v97, 31, v96
	s_wait_loadcnt_dscnt 0x0
	v_and_b32_e32 v3, 1, v22
	v_add_nc_u64_e32 v[84:85], 32, v[68:69]
	v_cmp_eq_u32_e64 s10, 1, v3
	s_xor_b32 s26, s10, -1
	s_branch .LBB16_73
.LBB16_71:                              ;   in Loop: Header=BB16_73 Depth=1
	s_or_b32 exec_lo, exec_lo, s14
.LBB16_72:                              ;   in Loop: Header=BB16_73 Depth=1
	s_delay_alu instid0(SALU_CYCLE_1) | instskip(SKIP_1) | instid1(VALU_DEP_1)
	s_or_b32 exec_lo, exec_lo, s13
	v_add_nc_u64_e32 v[52:53], v[52:53], v[38:39]
	v_cmp_ge_u64_e32 vcc_lo, v[52:53], v[6:7]
	s_or_b32 s22, vcc_lo, s22
	s_delay_alu instid0(SALU_CYCLE_1)
	s_and_not1_b32 exec_lo, exec_lo, s22
	s_cbranch_execz .LBB16_1010
.LBB16_73:                              ; =>This Loop Header: Depth=1
                                        ;     Child Loop BB16_78 Depth 2
                                        ;       Child Loop BB16_86 Depth 3
                                        ;       Child Loop BB16_110 Depth 3
	;; [unrolled: 1-line block ×5, first 2 shown]
                                        ;         Child Loop BB16_162 Depth 4
                                        ;       Child Loop BB16_171 Depth 3
                                        ;       Child Loop BB16_176 Depth 3
                                        ;         Child Loop BB16_177 Depth 4
                                        ;       Child Loop BB16_189 Depth 3
                                        ;       Child Loop BB16_194 Depth 3
	;; [unrolled: 1-line block ×6, first 2 shown]
                                        ;     Child Loop BB16_397 Depth 2
                                        ;       Child Loop BB16_403 Depth 3
                                        ;       Child Loop BB16_427 Depth 3
	;; [unrolled: 1-line block ×3, first 2 shown]
                                        ;     Child Loop BB16_255 Depth 2
                                        ;       Child Loop BB16_263 Depth 3
                                        ;       Child Loop BB16_287 Depth 3
	;; [unrolled: 1-line block ×9, first 2 shown]
                                        ;     Child Loop BB16_469 Depth 2
                                        ;       Child Loop BB16_475 Depth 3
                                        ;       Child Loop BB16_499 Depth 3
	;; [unrolled: 1-line block ×3, first 2 shown]
                                        ;     Child Loop BB16_542 Depth 2
                                        ;       Child Loop BB16_545 Depth 3
                                        ;         Child Loop BB16_553 Depth 4
                                        ;         Child Loop BB16_581 Depth 4
	;; [unrolled: 1-line block ×5, first 2 shown]
                                        ;           Child Loop BB16_633 Depth 5
                                        ;         Child Loop BB16_642 Depth 4
                                        ;         Child Loop BB16_647 Depth 4
                                        ;           Child Loop BB16_648 Depth 5
                                        ;         Child Loop BB16_660 Depth 4
                                        ;         Child Loop BB16_665 Depth 4
	;; [unrolled: 1-line block ×6, first 2 shown]
                                        ;       Child Loop BB16_726 Depth 3
                                        ;         Child Loop BB16_732 Depth 4
                                        ;         Child Loop BB16_760 Depth 4
	;; [unrolled: 1-line block ×3, first 2 shown]
                                        ;     Child Loop BB16_804 Depth 2
                                        ;       Child Loop BB16_812 Depth 3
                                        ;       Child Loop BB16_836 Depth 3
	;; [unrolled: 1-line block ×9, first 2 shown]
                                        ;     Child Loop BB16_944 Depth 2
                                        ;       Child Loop BB16_950 Depth 3
                                        ;       Child Loop BB16_974 Depth 3
	;; [unrolled: 1-line block ×3, first 2 shown]
	flat_load_b32 v22, v[18:19]
	v_sub_nc_u64_e32 v[2:3], v[6:7], v[52:53]
	v_add_nc_u64_e32 v[100:101], v[52:53], v[16:17]
	s_mov_b32 s13, exec_lo
	s_delay_alu instid0(VALU_DEP_2) | instskip(NEXT) | instid1(VALU_DEP_3)
	v_cvt_f64_u32_e32 v[4:5], v3
	v_cvt_f64_u32_e32 v[2:3], v2
	s_delay_alu instid0(VALU_DEP_2) | instskip(NEXT) | instid1(VALU_DEP_1)
	v_ldexp_f64 v[4:5], v[4:5], 32
	v_add_f64_e32 v[2:3], v[4:5], v[2:3]
	s_delay_alu instid0(VALU_DEP_1) | instskip(NEXT) | instid1(VALU_DEP_1)
	v_min_num_f64_e32 v[2:3], v[64:65], v[2:3]
	v_cvt_i32_f64_e32 v23, v[2:3]
	s_delay_alu instid0(VALU_DEP_1) | instskip(SKIP_3) | instid1(VALU_DEP_3)
	v_max_i32_e32 v63, 0, v23
	v_cmp_lt_i32_e64 s12, 0, v23
	s_wait_loadcnt_dscnt 0x0
	v_mad_nc_u64_u32 v[114:115], v20, v22, v[100:101]
	v_dual_ashrrev_i32 v5, 31, v22 :: v_dual_add_nc_u32 v3, 31, v63
	s_delay_alu instid0(VALU_DEP_1) | instskip(NEXT) | instid1(VALU_DEP_3)
	v_ashrrev_i32_e32 v4, 31, v3
	v_mad_u32 v2, v21, v22, v115
	s_delay_alu instid0(VALU_DEP_2) | instskip(NEXT) | instid1(VALU_DEP_2)
	v_lshrrev_b32_e32 v4, 27, v4
	v_mad_u32 v115, v20, v5, v2
	s_delay_alu instid0(VALU_DEP_2) | instskip(NEXT) | instid1(VALU_DEP_1)
	v_add_nc_u32_e32 v2, v3, v4
	v_ashrrev_i32_e32 v22, 5, v2
	v_add_nc_u64_e32 v[2:3], v[10:11], v[100:101]
	s_delay_alu instid0(VALU_DEP_2) | instskip(SKIP_1) | instid1(VALU_DEP_2)
	v_lshlrev_b32_e32 v22, 4, v22
	v_add_nc_u64_e32 v[4:5], v[8:9], v[114:115]
	v_max_i32_e32 v72, s23, v22
	s_wait_xcnt 0x0
	s_delay_alu instid0(VALU_DEP_2)
	v_cmpx_ne_u64_e64 v[2:3], v[4:5]
	s_xor_b32 s28, exec_lo, s13
	s_cbranch_execz .LBB16_250
; %bb.74:                               ;   in Loop: Header=BB16_73 Depth=1
	v_dual_mov_b32 v2, 0 :: v_dual_mov_b32 v112, v72
	v_mov_b32_e32 v102, 0
	s_and_saveexec_b32 s29, s12
	s_cbranch_execz .LBB16_393
; %bb.75:                               ;   in Loop: Header=BB16_73 Depth=1
	v_dual_mov_b32 v102, 0 :: v_dual_mov_b32 v112, v72
	s_mov_b32 s42, 1
	s_mov_b32 s41, -1
	s_mov_b32 s40, 0
	s_branch .LBB16_78
.LBB16_76:                              ;   in Loop: Header=BB16_78 Depth=2
	s_wait_xcnt 0x0
	s_or_b32 exec_lo, exec_lo, s14
	v_add_nc_u64_e32 v[98:99], 2, v[98:99]
	global_wb scope:SCOPE_SYS
	s_wait_storecnt 0x0
	s_wait_loadcnt_dscnt 0x0
	flat_store_b64 v[26:27], v[98:99] scope:SCOPE_SYS
.LBB16_77:                              ;   in Loop: Header=BB16_78 Depth=2
	s_wait_xcnt 0x0
	s_or_b32 exec_lo, exec_lo, s13
	v_dual_add_nc_u32 v102, v112, v102 :: v_dual_mov_b32 v2, s42
	s_xor_b32 s13, s41, -1
	s_mov_b32 s41, 0
	s_mov_b32 s42, 2
	s_delay_alu instid0(VALU_DEP_1) | instskip(SKIP_1) | instid1(SALU_CYCLE_1)
	v_cmp_ge_i32_e32 vcc_lo, v102, v63
	s_or_b32 s13, s13, vcc_lo
	s_and_b32 s13, exec_lo, s13
	s_delay_alu instid0(SALU_CYCLE_1) | instskip(NEXT) | instid1(SALU_CYCLE_1)
	s_or_b32 s40, s13, s40
	s_and_not1_b32 exec_lo, exec_lo, s40
	s_cbranch_execz .LBB16_392
.LBB16_78:                              ;   Parent Loop BB16_73 Depth=1
                                        ; =>  This Loop Header: Depth=2
                                        ;       Child Loop BB16_86 Depth 3
                                        ;       Child Loop BB16_110 Depth 3
	;; [unrolled: 1-line block ×5, first 2 shown]
                                        ;         Child Loop BB16_162 Depth 4
                                        ;       Child Loop BB16_171 Depth 3
                                        ;       Child Loop BB16_176 Depth 3
                                        ;         Child Loop BB16_177 Depth 4
                                        ;       Child Loop BB16_189 Depth 3
                                        ;       Child Loop BB16_194 Depth 3
	;; [unrolled: 1-line block ×6, first 2 shown]
	s_and_saveexec_b32 s13, s0
	s_cbranch_execz .LBB16_80
; %bb.79:                               ;   in Loop: Header=BB16_78 Depth=2
	s_trap 2
	ds_load_b64 v[22:23], v0
	ds_load_2addr_b64 v[2:5], v0 offset1:1
	s_wait_dscnt 0x1
	v_add_nc_u64_e32 v[24:25], v[22:23], v[114:115]
	v_cmp_ne_u64_e32 vcc_lo, 0, v[22:23]
	v_ashrrev_i32_e32 v103, 31, v102
	s_wait_dscnt 0x0
	v_add_nc_u64_e32 v[2:3], v[2:3], v[100:101]
	v_add_nc_u64_e32 v[4:5], v[4:5], v[114:115]
	s_delay_alu instid0(VALU_DEP_3) | instskip(NEXT) | instid1(VALU_DEP_1)
	v_add_nc_u64_e32 v[24:25], v[24:25], v[102:103]
	v_cndmask_b32_e32 v23, 0, v25, vcc_lo
	s_delay_alu instid0(VALU_DEP_4) | instskip(NEXT) | instid1(VALU_DEP_4)
	v_add_nc_u64_e32 v[2:3], v[2:3], v[102:103]
	v_add_nc_u64_e32 v[4:5], v[4:5], v[102:103]
	s_delay_alu instid0(VALU_DEP_4)
	v_cndmask_b32_e32 v22, 0, v24, vcc_lo
	ds_store_b64 v0, v[2:3]
	ds_store_b64 v0, v[4:5]
	;; [unrolled: 1-line block ×3, first 2 shown]
.LBB16_80:                              ;   in Loop: Header=BB16_78 Depth=2
	s_or_b32 exec_lo, exec_lo, s13
	v_sub_nc_u32_e32 v2, v63, v102
	v_and_b32_e32 v3, 8, v30
	s_mov_b32 s14, exec_lo
	s_delay_alu instid0(VALU_DEP_2) | instskip(NEXT) | instid1(VALU_DEP_2)
	v_min_i32_e32 v112, v112, v2
	v_cmpx_ne_u32_e32 0, v3
	s_cbranch_execz .LBB16_102
; %bb.81:                               ;   in Loop: Header=BB16_78 Depth=2
	s_wait_loadcnt 0x0
	v_add_nc_u64_e32 v[4:5], 8, v[36:37]
	v_add_nc_u64_e32 v[2:3], 2, v[98:99]
	s_mov_b32 s15, exec_lo
	s_delay_alu instid0(VALU_DEP_1)
	v_cmpx_lt_u64_e64 v[4:5], v[2:3]
	s_cbranch_execz .LBB16_93
; %bb.82:                               ;   in Loop: Header=BB16_78 Depth=2
	v_and_b32_e32 v4, 64, v30
	s_mov_b32 s16, 0
	s_mov_b32 s45, 0
                                        ; implicit-def: $sgpr17
                                        ; implicit-def: $sgpr43
                                        ; implicit-def: $sgpr44
	s_delay_alu instid0(VALU_DEP_1)
	v_cmp_eq_u32_e32 vcc_lo, 0, v4
	s_branch .LBB16_86
.LBB16_83:                              ;   in Loop: Header=BB16_86 Depth=3
	s_wait_loadcnt_dscnt 0x0
	v_add_nc_u64_e32 v[22:23], 8, v[36:37]
	s_or_b32 s56, s56, exec_lo
	s_delay_alu instid0(VALU_DEP_1)
	v_cmp_ge_u64_e64 s13, v[22:23], v[2:3]
	s_or_not1_b32 s47, s13, exec_lo
.LBB16_84:                              ;   in Loop: Header=BB16_86 Depth=3
	s_or_b32 exec_lo, exec_lo, s58
	s_delay_alu instid0(SALU_CYCLE_1)
	s_and_not1_b32 s13, s44, exec_lo
	s_and_b32 s44, s56, exec_lo
	s_and_not1_b32 s43, s43, exec_lo
	s_and_b32 s47, s47, exec_lo
	s_or_b32 s44, s13, s44
	s_or_b32 s43, s43, s47
.LBB16_85:                              ;   in Loop: Header=BB16_86 Depth=3
	s_or_b32 exec_lo, exec_lo, s46
	s_delay_alu instid0(SALU_CYCLE_1) | instskip(NEXT) | instid1(SALU_CYCLE_1)
	s_and_b32 s13, exec_lo, s43
	s_or_b32 s16, s13, s16
	s_and_not1_b32 s13, s17, exec_lo
	s_and_b32 s17, s44, exec_lo
	s_delay_alu instid0(SALU_CYCLE_1)
	s_or_b32 s17, s13, s17
	s_and_not1_b32 exec_lo, exec_lo, s16
	s_cbranch_execz .LBB16_90
.LBB16_86:                              ;   Parent Loop BB16_73 Depth=1
                                        ;     Parent Loop BB16_78 Depth=2
                                        ; =>    This Inner Loop Header: Depth=3
	s_sleep 1
	s_wait_loadcnt_dscnt 0x0
	flat_load_b64 v[36:37], v[26:27] scope:SCOPE_SYS
	s_or_b32 s44, s44, exec_lo
	s_or_b32 s43, s43, exec_lo
                                        ; implicit-def: $vgpr4
	s_wait_xcnt 0x0
	s_and_saveexec_b32 s46, vcc_lo
	s_cbranch_execz .LBB16_85
; %bb.87:                               ;   in Loop: Header=BB16_86 Depth=3
	s_cmp_lt_i32 s45, 0x270f
	s_mov_b32 s47, -1
	s_cselect_b32 s57, -1, 0
	s_cmp_gt_i32 s45, 0x270e
	s_cbranch_scc0 .LBB16_89
; %bb.88:                               ;   in Loop: Header=BB16_86 Depth=3
	s_trap 2
	ds_load_b64 v[4:5], v0
	s_and_not1_b32 s45, s57, exec_lo
	s_mov_b32 s56, 0
	s_wait_storecnt 0x0
	s_wait_loadcnt_dscnt 0x0
	flat_load_b32 v4, v[4:5] scope:SCOPE_SYS
	s_wait_loadcnt_dscnt 0x0
	global_inv scope:SCOPE_SYS
	v_cmp_eq_u32_e64 s13, 0, v4
	s_and_b32 s13, s13, exec_lo
	s_delay_alu instid0(SALU_CYCLE_1)
	s_or_b32 s57, s45, s13
	s_mov_b32 s45, 0
	s_and_saveexec_b32 s58, s57
	s_cbranch_execz .LBB16_84
	s_branch .LBB16_83
.LBB16_89:                              ;   in Loop: Header=BB16_86 Depth=3
	s_add_co_i32 s45, s45, 1
	s_mov_b32 s56, -1
                                        ; implicit-def: $vgpr4
	s_and_saveexec_b32 s58, s57
	s_cbranch_execz .LBB16_84
	s_branch .LBB16_83
.LBB16_90:                              ;   in Loop: Header=BB16_78 Depth=2
	s_or_b32 exec_lo, exec_lo, s16
	s_xor_b32 s13, s17, -1
	s_delay_alu instid0(SALU_CYCLE_1) | instskip(NEXT) | instid1(SALU_CYCLE_1)
	s_and_saveexec_b32 s16, s13
	s_xor_b32 s13, exec_lo, s16
	s_cbranch_execz .LBB16_92
; %bb.91:                               ;   in Loop: Header=BB16_78 Depth=2
	v_or_b32_e32 v30, 64, v30
	s_wait_storecnt 0x0
	s_wait_loadcnt_dscnt 0x0
	ds_store_b32 v0, v4
	s_trap 2
.LBB16_92:                              ;   in Loop: Header=BB16_78 Depth=2
	s_or_b32 exec_lo, exec_lo, s13
.LBB16_93:                              ;   in Loop: Header=BB16_78 Depth=2
	s_delay_alu instid0(SALU_CYCLE_1) | instskip(SKIP_4) | instid1(VALU_DEP_2)
	s_or_b32 exec_lo, exec_lo, s15
	v_and_b32_e32 v4, 0x100, v30
	v_and_b32_e32 v48, 7, v98
	s_mov_b32 s13, -1
	;;#ASMSTART
	s_wakeup
	;;#ASMEND
	v_cmp_ne_u32_e32 vcc_lo, 0, v4
                                        ; implicit-def: $vgpr4_vgpr5
	s_and_saveexec_b32 s15, vcc_lo
	s_cbranch_execz .LBB16_97
; %bb.94:                               ;   in Loop: Header=BB16_78 Depth=2
	v_mad_nc_u64_u32 v[98:99], v48, 24, v[12:13]
	v_ashrrev_i32_e32 v113, 31, v112
	s_clause 0x1
	flat_load_b32 v4, v[98:99]
	flat_store_b64 v[98:99], v[112:113] offset:8
	s_wait_loadcnt_dscnt 0x1
	v_cmp_eq_u32_e64 s13, 1, v4
	v_cmp_ne_u32_e32 vcc_lo, 1, v4
                                        ; implicit-def: $vgpr4_vgpr5
	s_wait_xcnt 0x0
	s_and_saveexec_b32 s16, s13
	s_cbranch_execz .LBB16_96
; %bb.95:                               ;   in Loop: Header=BB16_78 Depth=2
	flat_load_b32 v4, v[98:99] offset:4 scope:SCOPE_SYS
	s_wait_loadcnt_dscnt 0x0
	v_ashrrev_i32_e32 v5, 31, v4
.LBB16_96:                              ;   in Loop: Header=BB16_78 Depth=2
	s_wait_xcnt 0x0
	s_or_b32 exec_lo, exec_lo, s16
	s_delay_alu instid0(SALU_CYCLE_1)
	s_or_not1_b32 s13, vcc_lo, exec_lo
.LBB16_97:                              ;   in Loop: Header=BB16_78 Depth=2
	s_or_b32 exec_lo, exec_lo, s15
	s_and_saveexec_b32 s15, s13
; %bb.98:                               ;   in Loop: Header=BB16_78 Depth=2
	v_mul_u64_e32 v[4:5], v[48:49], v[28:29]
; %bb.99:                               ;   in Loop: Header=BB16_78 Depth=2
	s_or_b32 exec_lo, exec_lo, s15
	s_delay_alu instid0(VALU_DEP_1)
	v_add_nc_u64_e32 v[4:5], v[32:33], v[4:5]
	v_and_b32_e32 v22, 0x2000, v30
	s_mov_b32 s13, exec_lo
	ds_store_b64 v0, v[4:5] offset:792
	v_cmpx_ne_u32_e32 0, v22
	s_cbranch_execz .LBB16_101
; %bb.100:                              ;   in Loop: Header=BB16_78 Depth=2
	ds_load_b64 v[4:5], v0 offset:872
	s_wait_dscnt 0x0
	v_add_nc_u64_e32 v[4:5], 1, v[4:5]
	ds_store_b64 v0, v[4:5] offset:872
.LBB16_101:                             ;   in Loop: Header=BB16_78 Depth=2
	s_or_b32 exec_lo, exec_lo, s13
	v_mov_b64_e32 v[98:99], v[2:3]
.LBB16_102:                             ;   in Loop: Header=BB16_78 Depth=2
	s_or_b32 exec_lo, exec_lo, s14
	s_and_saveexec_b32 s13, s1
	s_cbranch_execz .LBB16_121
; %bb.103:                              ;   in Loop: Header=BB16_78 Depth=2
	s_and_saveexec_b32 s14, s2
	s_delay_alu instid0(SALU_CYCLE_1)
	s_xor_b32 s14, exec_lo, s14
	s_cbranch_execz .LBB16_118
; %bb.104:                              ;   in Loop: Header=BB16_78 Depth=2
	s_and_saveexec_b32 s15, s5
	s_cbranch_execz .LBB16_117
; %bb.105:                              ;   in Loop: Header=BB16_78 Depth=2
	s_mov_b32 s17, exec_lo
	s_mov_b32 s16, exec_lo
	v_mbcnt_lo_u32_b32 v2, s17, 0
	global_wb scope:SCOPE_DEV
	s_wait_storecnt 0x0
	s_wait_loadcnt_dscnt 0x0
	global_inv scope:SCOPE_DEV
	v_cmpx_eq_u32_e32 0, v2
	s_cbranch_execz .LBB16_107
; %bb.106:                              ;   in Loop: Header=BB16_78 Depth=2
	s_bcnt1_i32_b32 s17, s17
	s_delay_alu instid0(SALU_CYCLE_1)
	v_mov_b32_e32 v48, s17
	s_wait_loadcnt 0x0
	ds_add_u64 v0, v[48:49]
	s_trap 2
.LBB16_107:                             ;   in Loop: Header=BB16_78 Depth=2
	s_or_b32 exec_lo, exec_lo, s16
	s_trap 2
	ds_load_b64 v[2:3], v0
	s_wait_dscnt 0x0
	v_add_nc_u64_e32 v[14:15], v[14:15], v[50:51]
	s_mov_b32 s16, exec_lo
	s_delay_alu instid0(VALU_DEP_1)
	v_cmpx_lt_u64_e64 v[2:3], v[14:15]
	s_cbranch_execz .LBB16_116
; %bb.108:                              ;   in Loop: Header=BB16_78 Depth=2
	s_mov_b32 s17, 0
	s_mov_b32 s45, 0
                                        ; implicit-def: $sgpr43
                                        ; implicit-def: $sgpr44
	s_branch .LBB16_110
.LBB16_109:                             ;   in Loop: Header=BB16_110 Depth=3
	s_or_b32 exec_lo, exec_lo, s47
	s_delay_alu instid0(SALU_CYCLE_1) | instskip(NEXT) | instid1(SALU_CYCLE_1)
	s_and_b32 s46, exec_lo, s56
	s_or_b32 s17, s46, s17
	s_and_not1_b32 s43, s43, exec_lo
	s_and_b32 s46, s44, exec_lo
	s_delay_alu instid0(SALU_CYCLE_1)
	s_or_b32 s43, s43, s46
	s_and_not1_b32 exec_lo, exec_lo, s17
	s_cbranch_execz .LBB16_114
.LBB16_110:                             ;   Parent Loop BB16_73 Depth=1
                                        ;     Parent Loop BB16_78 Depth=2
                                        ; =>    This Inner Loop Header: Depth=3
	s_add_co_i32 s45, s45, 1
	s_delay_alu instid0(SALU_CYCLE_1) | instskip(SKIP_1) | instid1(SALU_CYCLE_1)
	s_cmp_lg_u32 s45, 0x2710
	s_cselect_b32 s46, -1, 0
	s_and_b32 vcc_lo, exec_lo, s46
	s_cbranch_vccz .LBB16_112
; %bb.111:                              ;   in Loop: Header=BB16_110 Depth=3
	s_mov_b32 s56, -1
	s_or_b32 s44, s44, exec_lo
	s_and_saveexec_b32 s47, s46
	s_cbranch_execz .LBB16_109
	s_branch .LBB16_113
.LBB16_112:                             ;   in Loop: Header=BB16_110 Depth=3
	s_trap 2
	ds_load_b64 v[2:3], v0
	s_and_not1_b32 s46, s46, exec_lo
	s_mov_b32 s45, 0
	s_wait_loadcnt_dscnt 0x0
	flat_load_b32 v2, v[2:3] scope:SCOPE_SYS
	s_wait_loadcnt_dscnt 0x0
	global_inv scope:SCOPE_SYS
	v_cmp_eq_u32_e32 vcc_lo, 0, v2
	s_and_b32 s47, vcc_lo, exec_lo
	s_delay_alu instid0(SALU_CYCLE_1)
	s_or_b32 s46, s46, s47
	s_mov_b32 s56, -1
	s_or_b32 s44, s44, exec_lo
	s_and_saveexec_b32 s47, s46
	s_cbranch_execz .LBB16_109
.LBB16_113:                             ;   in Loop: Header=BB16_110 Depth=3
	s_sleep 1
	s_trap 2
	ds_load_b64 v[2:3], v0
	s_wait_dscnt 0x0
	s_and_not1_b32 s44, s44, exec_lo
	v_cmp_ge_u64_e32 vcc_lo, v[2:3], v[14:15]
	s_or_not1_b32 s56, vcc_lo, exec_lo
	s_branch .LBB16_109
.LBB16_114:                             ;   in Loop: Header=BB16_78 Depth=2
	s_or_b32 exec_lo, exec_lo, s17
	s_and_saveexec_b32 s17, s43
	s_delay_alu instid0(SALU_CYCLE_1)
	s_xor_b32 s17, exec_lo, s17
	s_cbranch_execz .LBB16_116
; %bb.115:                              ;   in Loop: Header=BB16_78 Depth=2
	ds_store_b32 v0, v58
	s_trap 2
.LBB16_116:                             ;   in Loop: Header=BB16_78 Depth=2
	s_or_b32 exec_lo, exec_lo, s16
	;;#ASMSTART
	s_wakeup
	;;#ASMEND
.LBB16_117:                             ;   in Loop: Header=BB16_78 Depth=2
	s_or_b32 exec_lo, exec_lo, s15
.LBB16_118:                             ;   in Loop: Header=BB16_78 Depth=2
	s_and_not1_saveexec_b32 s14, s14
	s_cbranch_execz .LBB16_120
; %bb.119:                              ;   in Loop: Header=BB16_78 Depth=2
	global_wb scope:SCOPE_DEV
	s_wait_storecnt 0x0
	s_wait_loadcnt_dscnt 0x0
	global_inv scope:SCOPE_DEV
	s_barrier_signal -1
	s_barrier_wait -1
.LBB16_120:                             ;   in Loop: Header=BB16_78 Depth=2
	s_or_b32 exec_lo, exec_lo, s14
.LBB16_121:                             ;   in Loop: Header=BB16_78 Depth=2
	s_delay_alu instid0(SALU_CYCLE_1) | instskip(SKIP_3) | instid1(VALU_DEP_1)
	s_or_b32 exec_lo, exec_lo, s13
	s_trap 2
	ds_load_b32 v2, v0
	v_and_b32_e32 v3, 0x4000, v30
	v_cmp_ne_u32_e32 vcc_lo, 0, v3
	s_and_b32 s14, s27, vcc_lo
	s_delay_alu instid0(SALU_CYCLE_1)
	s_and_saveexec_b32 s13, s14
	s_cbranch_execz .LBB16_140
; %bb.122:                              ;   in Loop: Header=BB16_78 Depth=2
	s_and_saveexec_b32 s14, s2
	s_delay_alu instid0(SALU_CYCLE_1)
	s_xor_b32 s14, exec_lo, s14
	s_cbranch_execz .LBB16_137
; %bb.123:                              ;   in Loop: Header=BB16_78 Depth=2
	s_and_saveexec_b32 s15, s5
	s_cbranch_execz .LBB16_136
; %bb.124:                              ;   in Loop: Header=BB16_78 Depth=2
	s_mov_b32 s17, exec_lo
	s_mov_b32 s16, exec_lo
	v_mbcnt_lo_u32_b32 v3, s17, 0
	global_wb scope:SCOPE_DEV
	s_wait_storecnt 0x0
	s_wait_loadcnt_dscnt 0x0
	global_inv scope:SCOPE_DEV
	v_cmpx_eq_u32_e32 0, v3
	s_cbranch_execz .LBB16_126
; %bb.125:                              ;   in Loop: Header=BB16_78 Depth=2
	s_bcnt1_i32_b32 s17, s17
	s_delay_alu instid0(SALU_CYCLE_1)
	v_mov_b32_e32 v48, s17
	s_wait_loadcnt 0x0
	ds_add_u64 v0, v[48:49]
	s_trap 2
.LBB16_126:                             ;   in Loop: Header=BB16_78 Depth=2
	s_or_b32 exec_lo, exec_lo, s16
	s_trap 2
	ds_load_b64 v[4:5], v0
	s_wait_dscnt 0x0
	v_add_nc_u64_e32 v[14:15], v[14:15], v[50:51]
	s_mov_b32 s16, exec_lo
	s_delay_alu instid0(VALU_DEP_1)
	v_cmpx_lt_u64_e64 v[4:5], v[14:15]
	s_cbranch_execz .LBB16_135
; %bb.127:                              ;   in Loop: Header=BB16_78 Depth=2
	s_mov_b32 s17, 0
	s_mov_b32 s45, 0
                                        ; implicit-def: $sgpr43
                                        ; implicit-def: $sgpr44
	s_branch .LBB16_129
.LBB16_128:                             ;   in Loop: Header=BB16_129 Depth=3
	s_or_b32 exec_lo, exec_lo, s47
	s_delay_alu instid0(SALU_CYCLE_1) | instskip(NEXT) | instid1(SALU_CYCLE_1)
	s_and_b32 s46, exec_lo, s56
	s_or_b32 s17, s46, s17
	s_and_not1_b32 s43, s43, exec_lo
	s_and_b32 s46, s44, exec_lo
	s_delay_alu instid0(SALU_CYCLE_1)
	s_or_b32 s43, s43, s46
	s_and_not1_b32 exec_lo, exec_lo, s17
	s_cbranch_execz .LBB16_133
.LBB16_129:                             ;   Parent Loop BB16_73 Depth=1
                                        ;     Parent Loop BB16_78 Depth=2
                                        ; =>    This Inner Loop Header: Depth=3
	s_add_co_i32 s45, s45, 1
	s_delay_alu instid0(SALU_CYCLE_1) | instskip(SKIP_1) | instid1(SALU_CYCLE_1)
	s_cmp_lg_u32 s45, 0x2710
	s_cselect_b32 s46, -1, 0
	s_and_b32 vcc_lo, exec_lo, s46
	s_cbranch_vccz .LBB16_131
; %bb.130:                              ;   in Loop: Header=BB16_129 Depth=3
	s_mov_b32 s56, -1
	s_or_b32 s44, s44, exec_lo
	s_and_saveexec_b32 s47, s46
	s_cbranch_execz .LBB16_128
	s_branch .LBB16_132
.LBB16_131:                             ;   in Loop: Header=BB16_129 Depth=3
	s_trap 2
	ds_load_b64 v[4:5], v0
	s_and_not1_b32 s46, s46, exec_lo
	s_mov_b32 s45, 0
	s_wait_loadcnt_dscnt 0x0
	flat_load_b32 v3, v[4:5] scope:SCOPE_SYS
	s_wait_loadcnt_dscnt 0x0
	global_inv scope:SCOPE_SYS
	v_cmp_eq_u32_e32 vcc_lo, 0, v3
	s_and_b32 s47, vcc_lo, exec_lo
	s_delay_alu instid0(SALU_CYCLE_1)
	s_or_b32 s46, s46, s47
	s_mov_b32 s56, -1
	s_or_b32 s44, s44, exec_lo
	s_and_saveexec_b32 s47, s46
	s_cbranch_execz .LBB16_128
.LBB16_132:                             ;   in Loop: Header=BB16_129 Depth=3
	s_sleep 1
	s_trap 2
	ds_load_b64 v[4:5], v0
	s_wait_dscnt 0x0
	s_and_not1_b32 s44, s44, exec_lo
	v_cmp_ge_u64_e32 vcc_lo, v[4:5], v[14:15]
	s_or_not1_b32 s56, vcc_lo, exec_lo
	s_branch .LBB16_128
.LBB16_133:                             ;   in Loop: Header=BB16_78 Depth=2
	s_or_b32 exec_lo, exec_lo, s17
	s_and_saveexec_b32 s17, s43
	s_delay_alu instid0(SALU_CYCLE_1)
	s_xor_b32 s17, exec_lo, s17
	s_cbranch_execz .LBB16_135
; %bb.134:                              ;   in Loop: Header=BB16_78 Depth=2
	ds_store_b32 v0, v58
	s_trap 2
.LBB16_135:                             ;   in Loop: Header=BB16_78 Depth=2
	s_or_b32 exec_lo, exec_lo, s16
	;;#ASMSTART
	s_wakeup
	;;#ASMEND
.LBB16_136:                             ;   in Loop: Header=BB16_78 Depth=2
	s_or_b32 exec_lo, exec_lo, s15
.LBB16_137:                             ;   in Loop: Header=BB16_78 Depth=2
	s_and_not1_saveexec_b32 s14, s14
	s_cbranch_execz .LBB16_139
; %bb.138:                              ;   in Loop: Header=BB16_78 Depth=2
	global_wb scope:SCOPE_DEV
	s_wait_storecnt 0x0
	s_wait_loadcnt_dscnt 0x0
	global_inv scope:SCOPE_DEV
	s_barrier_signal -1
	s_barrier_wait -1
.LBB16_139:                             ;   in Loop: Header=BB16_78 Depth=2
	s_or_b32 exec_lo, exec_lo, s14
.LBB16_140:                             ;   in Loop: Header=BB16_78 Depth=2
	s_delay_alu instid0(SALU_CYCLE_1)
	s_or_b32 exec_lo, exec_lo, s13
	s_trap 2
	ds_load_b64 v[116:117], v0
	s_wait_dscnt 0x0
	v_cmp_eq_u64_e32 vcc_lo, 0, v[116:117]
	s_cbranch_vccnz .LBB16_149
; %bb.141:                              ;   in Loop: Header=BB16_78 Depth=2
	s_trap 2
	ds_load_b64 v[118:119], v0
	s_wait_dscnt 0x0
	v_cmp_eq_u64_e32 vcc_lo, 0, v[118:119]
	s_cbranch_vccnz .LBB16_149
; %bb.142:                              ;   in Loop: Header=BB16_78 Depth=2
	s_trap 2
	ds_load_b64 v[40:41], v0
	v_cmp_eq_u32_e64 s13, 0, v2
	s_delay_alu instid0(VALU_DEP_1)
	v_cndmask_b32_e64 v48, 0, v112, s13
	s_mov_b32 s13, -1
	s_wait_dscnt 0x0
	v_cmp_ne_u64_e32 vcc_lo, 0, v[40:41]
	s_cbranch_vccz .LBB16_180
; %bb.143:                              ;   in Loop: Header=BB16_78 Depth=2
	s_and_saveexec_b32 s14, s6
	s_cbranch_execz .LBB16_145
; %bb.144:                              ;   in Loop: Header=BB16_78 Depth=2
	ds_load_b32 v2, v0 offset:720
	s_wait_dscnt 0x0
	v_and_b32_e32 v2, 15, v2
	s_delay_alu instid0(VALU_DEP_1)
	v_cmp_eq_u32_e32 vcc_lo, 0, v2
	s_or_not1_b32 s13, vcc_lo, exec_lo
.LBB16_145:                             ;   in Loop: Header=BB16_78 Depth=2
	s_or_b32 exec_lo, exec_lo, s14
	s_and_saveexec_b32 s14, s7
	s_cbranch_execz .LBB16_147
; %bb.146:                              ;   in Loop: Header=BB16_78 Depth=2
	ds_load_b32 v2, v0 offset:784
	s_wait_dscnt 0x0
	v_and_b32_e32 v2, 15, v2
	s_delay_alu instid0(VALU_DEP_1) | instskip(SKIP_3) | instid1(SALU_CYCLE_1)
	v_cmp_eq_u32_e32 vcc_lo, 0, v2
	s_and_b32 s15, s13, vcc_lo
	s_and_not1_b32 s13, s13, exec_lo
	s_and_b32 s15, s15, exec_lo
	s_or_b32 s13, s13, s15
.LBB16_147:                             ;   in Loop: Header=BB16_78 Depth=2
	s_or_b32 exec_lo, exec_lo, s14
	s_xor_b32 s13, s13, -1
	v_dual_mov_b32 v103, 0 :: v_dual_mov_b32 v113, v48
	v_cndmask_b32_e64 v2, 0, 1, s13
	v_mov_b32_e32 v42, v0
	s_mov_b32 s13, -1
	s_delay_alu instid0(VALU_DEP_2)
	v_cmp_ne_u32_e32 vcc_lo, 0, v2
	v_mov_b32_e32 v2, v61
	s_cbranch_vccz .LBB16_154
; %bb.148:                              ;   in Loop: Header=BB16_78 Depth=2
	s_and_saveexec_b32 s15, s13
	s_cbranch_execnz .LBB16_169
	s_branch .LBB16_179
.LBB16_149:                             ;   in Loop: Header=BB16_78 Depth=2
	s_mov_b32 s13, 0
	s_and_saveexec_b32 s14, s1
	s_cbranch_execnz .LBB16_210
.LBB16_150:                             ;   in Loop: Header=BB16_78 Depth=2
	s_or_b32 exec_lo, exec_lo, s14
                                        ; implicit-def: $vgpr2
	s_and_saveexec_b32 s14, s10
	s_delay_alu instid0(SALU_CYCLE_1)
	s_xor_b32 s14, exec_lo, s14
	s_cbranch_execz .LBB16_228
.LBB16_151:                             ;   in Loop: Header=BB16_78 Depth=2
	v_and_b32_e32 v2, 16, v30
	s_delay_alu instid0(VALU_DEP_1) | instskip(SKIP_2) | instid1(SALU_CYCLE_1)
	v_cmp_ne_u32_e32 vcc_lo, 0, v2
	v_and_b32_e32 v2, 16, v30
	s_and_b32 s15, vcc_lo, s13
	s_and_saveexec_b32 s13, s15
	s_cbranch_execz .LBB16_153
; %bb.152:                              ;   in Loop: Header=BB16_78 Depth=2
	v_mov_b32_e32 v2, 1
	global_wb scope:SCOPE_SYS
	s_wait_storecnt 0x0
	s_wait_loadcnt_dscnt 0x0
	global_inv scope:SCOPE_SYS
.LBB16_153:                             ;   in Loop: Header=BB16_78 Depth=2
	s_or_b32 exec_lo, exec_lo, s13
	s_and_not1_saveexec_b32 s13, s14
	s_cbranch_execz .LBB16_247
	s_branch .LBB16_229
.LBB16_154:                             ;   in Loop: Header=BB16_78 Depth=2
	v_ashrrev_i32_e32 v2, 31, v48
	s_mov_b32 s13, exec_lo
	s_delay_alu instid0(VALU_DEP_1) | instskip(NEXT) | instid1(VALU_DEP_1)
	v_lshrrev_b32_e32 v2, 21, v2
	v_add_nc_u32_e32 v2, v48, v2
	s_delay_alu instid0(VALU_DEP_1) | instskip(NEXT) | instid1(VALU_DEP_1)
	v_ashrrev_i32_e32 v103, 11, v2
	v_sub_nc_u32_e32 v44, v103, v61
	s_delay_alu instid0(VALU_DEP_1)
	v_cmpx_lt_i32_e32 0, v44
	s_cbranch_execz .LBB16_158
; %bb.155:                              ;   in Loop: Header=BB16_78 Depth=2
	v_add_nc_u64_e32 v[2:3], v[116:117], v[82:83]
	v_add_nc_u64_e32 v[4:5], v[118:119], v[82:83]
	;; [unrolled: 1-line block ×3, first 2 shown]
	s_mov_b32 s14, 0
.LBB16_156:                             ;   Parent Loop BB16_73 Depth=1
                                        ;     Parent Loop BB16_78 Depth=2
                                        ; =>    This Inner Loop Header: Depth=3
	s_clause 0x3
	global_load_b128 v[22:25], v[2:3], off th:TH_LOAD_NT
	global_load_b128 v[74:77], v[2:3], off offset:512 th:TH_LOAD_NT
	global_load_b128 v[88:91], v[2:3], off offset:1024 th:TH_LOAD_NT
	;; [unrolled: 1-line block ×3, first 2 shown]
	v_sub_nc_u32_e32 v44, v44, v50
	s_wait_xcnt 0x0
	v_add_nc_u64_e32 v[2:3], v[2:3], v[54:55]
	s_wait_loadcnt 0x3
	global_store_b128 v[4:5], v[22:25], off th:TH_STORE_NT
	s_wait_loadcnt 0x2
	global_store_b128 v[4:5], v[74:77], off offset:512 th:TH_STORE_NT
	s_wait_loadcnt 0x1
	global_store_b128 v[4:5], v[88:91], off offset:1024 th:TH_STORE_NT
	s_wait_loadcnt 0x0
	global_store_b128 v[4:5], v[92:95], off offset:1536 th:TH_STORE_NT
	s_clause 0x3
	global_store_b128 v[42:43], v[22:25], off th:TH_STORE_NT
	global_store_b128 v[42:43], v[74:77], off offset:512 th:TH_STORE_NT
	global_store_b128 v[42:43], v[88:91], off offset:1024 th:TH_STORE_NT
	;; [unrolled: 1-line block ×3, first 2 shown]
	v_cmp_gt_i32_e32 vcc_lo, 1, v44
	s_wait_xcnt 0x4
	v_add_nc_u64_e32 v[4:5], v[4:5], v[54:55]
	s_wait_xcnt 0x0
	v_add_nc_u64_e32 v[42:43], v[42:43], v[54:55]
	s_or_b32 s14, vcc_lo, s14
	s_delay_alu instid0(SALU_CYCLE_1)
	s_and_not1_b32 exec_lo, exec_lo, s14
	s_cbranch_execnz .LBB16_156
; %bb.157:                              ;   in Loop: Header=BB16_78 Depth=2
	s_or_b32 exec_lo, exec_lo, s14
.LBB16_158:                             ;   in Loop: Header=BB16_78 Depth=2
	s_delay_alu instid0(SALU_CYCLE_1) | instskip(SKIP_3) | instid1(VALU_DEP_1)
	s_or_b32 exec_lo, exec_lo, s13
	v_dual_lshlrev_b32 v73, 11, v103 :: v_dual_mov_b32 v103, 0
	s_mov_b32 s13, 0
	s_mov_b32 s43, exec_lo
                                        ; implicit-def: $vgpr113
                                        ; implicit-def: $vgpr42
                                        ; implicit-def: $vgpr2
	v_cmpx_ne_u32_e64 v48, v73
	s_cbranch_execz .LBB16_168
; %bb.159:                              ;   in Loop: Header=BB16_78 Depth=2
	v_dual_lshlrev_b32 v2, 5, v44 :: v_dual_sub_nc_u32 v4, v48, v73
	s_mov_b32 s44, exec_lo
	s_delay_alu instid0(VALU_DEP_1) | instskip(NEXT) | instid1(VALU_DEP_1)
	v_dual_sub_nc_u32 v2, v62, v2 :: v_dual_ashrrev_i32 v5, 31, v4
	v_dual_ashrrev_i32 v3, 31, v2 :: v_dual_lshrrev_b32 v5, 23, v5
	s_delay_alu instid0(VALU_DEP_1) | instskip(NEXT) | instid1(VALU_DEP_1)
	v_lshrrev_b32_e32 v3, 27, v3
	v_add_nc_u32_e32 v3, v2, v3
	s_delay_alu instid0(VALU_DEP_1) | instskip(NEXT) | instid1(VALU_DEP_1)
	v_and_b32_e32 v22, 0xffffffe0, v3
	v_dual_add_nc_u32 v5, v4, v5 :: v_dual_sub_nc_u32 v75, v2, v22
	s_delay_alu instid0(VALU_DEP_1) | instskip(SKIP_1) | instid1(VALU_DEP_2)
	v_and_b32_e32 v74, 0xfffffe00, v5
	v_dual_ashrrev_i32 v3, 5, v3 :: v_dual_ashrrev_i32 v5, 9, v5
	v_dual_lshlrev_b32 v2, 4, v75 :: v_dual_sub_nc_u32 v76, v4, v74
	s_delay_alu instid0(VALU_DEP_1) | instskip(NEXT) | instid1(VALU_DEP_2)
	v_lshl_add_u32 v2, v3, 9, v2
	v_cmp_lt_i32_e64 s13, 15, v76
	s_delay_alu instid0(VALU_DEP_1) | instskip(NEXT) | instid1(VALU_DEP_1)
	v_add_co_ci_u32_e64 v5, null, 0, v5, s13
	v_dual_sub_nc_u32 v103, v4, v2 :: v_dual_sub_nc_u32 v77, v5, v3
	s_delay_alu instid0(VALU_DEP_1)
	v_cmpx_lt_i32_e32 15, v103
	s_cbranch_execz .LBB16_165
; %bb.160:                              ;   in Loop: Header=BB16_78 Depth=2
	v_add_nc_u32_e32 v2, v2, v73
	s_mov_b32 s45, 0
	s_delay_alu instid0(VALU_DEP_1) | instskip(NEXT) | instid1(VALU_DEP_1)
	v_ashrrev_i32_e32 v3, 31, v2
	v_add_nc_u64_e32 v[42:43], v[2:3], v[116:117]
	v_add_nc_u64_e32 v[44:45], v[2:3], v[118:119]
	;; [unrolled: 1-line block ×3, first 2 shown]
.LBB16_161:                             ;   Parent Loop BB16_73 Depth=1
                                        ;     Parent Loop BB16_78 Depth=2
                                        ; =>    This Loop Header: Depth=3
                                        ;         Child Loop BB16_162 Depth 4
	global_load_b128 v[2:5], v[42:43], off th:TH_LOAD_NT
	s_mov_b64 s[16:17], 0
	s_mov_b32 s46, -1
.LBB16_162:                             ;   Parent Loop BB16_73 Depth=1
                                        ;     Parent Loop BB16_78 Depth=2
                                        ;       Parent Loop BB16_161 Depth=3
                                        ; =>      This Inner Loop Header: Depth=4
	s_cmp_eq_u32 s16, 1
	s_cselect_b32 vcc_lo, -1, 0
	s_cmp_eq_u32 s16, 0
	s_wait_xcnt 0x0
	v_dual_cndmask_b32 v23, v45, v47 :: v_dual_cndmask_b32 v22, v44, v46
	s_cselect_b32 s14, -1, 0
	s_and_b32 s15, exec_lo, s46
	s_mov_b64 s[16:17], 1
	s_mov_b32 s46, 0
	v_add_nc_u64_e32 v[24:25], 0x200, v[22:23]
	s_wait_loadcnt 0x0
	global_store_b128 v[22:23], v[2:5], off th:TH_STORE_NT
	v_dual_cndmask_b32 v47, v47, v25 :: v_dual_cndmask_b32 v46, v46, v24
	v_dual_cndmask_b32 v45, v45, v25, s14 :: v_dual_cndmask_b32 v44, v44, v24, s14
	s_mov_b32 vcc_lo, s15
	s_cbranch_vccnz .LBB16_162
; %bb.163:                              ;   in Loop: Header=BB16_161 Depth=3
	v_dual_sub_nc_u32 v103, v103, v60 :: v_dual_sub_nc_u32 v77, v77, v50
	s_delay_alu instid0(VALU_DEP_2)
	v_add_nc_u64_e32 v[44:45], v[44:45], v[80:81]
	v_add_nc_u64_e32 v[46:47], v[46:47], v[80:81]
	s_wait_xcnt 0x1
	v_add_nc_u64_e32 v[42:43], v[86:87], v[42:43]
	v_cmp_gt_i32_e32 vcc_lo, 16, v103
	s_or_b32 s45, vcc_lo, s45
	s_wait_xcnt 0x0
	s_and_not1_b32 exec_lo, exec_lo, s45
	s_cbranch_execnz .LBB16_161
; %bb.164:                              ;   in Loop: Header=BB16_78 Depth=2
	s_or_b32 exec_lo, exec_lo, s45
.LBB16_165:                             ;   in Loop: Header=BB16_78 Depth=2
	s_delay_alu instid0(SALU_CYCLE_1) | instskip(SKIP_3) | instid1(VALU_DEP_1)
	s_or_b32 exec_lo, exec_lo, s44
	v_dual_mov_b32 v103, 0 :: v_dual_bitop2_b32 v3, 15, v48 bitop3:0x40
	s_mov_b32 s14, 0
	s_mov_b32 s15, exec_lo
                                        ; implicit-def: $vgpr42
                                        ; implicit-def: $vgpr2
	v_cndmask_b32_e64 v113, v76, v3, s13
	s_delay_alu instid0(VALU_DEP_1)
	v_cmpx_ne_u32_e32 0, v113
	s_cbranch_execz .LBB16_167
; %bb.166:                              ;   in Loop: Header=BB16_78 Depth=2
	v_cmp_lt_i32_e32 vcc_lo, 0, v77
	s_mov_b32 s14, exec_lo
	v_dual_cndmask_b32 v2, 0, v50 :: v_dual_sub_nc_u32 v3, v76, v3
	s_delay_alu instid0(VALU_DEP_1) | instskip(NEXT) | instid1(VALU_DEP_1)
	v_dual_cndmask_b32 v3, 0, v3, s13 :: v_dual_sub_nc_u32 v2, v2, v77
	v_add3_u32 v103, v74, v73, v3
	s_delay_alu instid0(VALU_DEP_2) | instskip(NEXT) | instid1(VALU_DEP_1)
	v_lshl_add_u32 v42, v2, 5, v75
	v_ashrrev_i32_e32 v2, 31, v42
	s_delay_alu instid0(VALU_DEP_1) | instskip(NEXT) | instid1(VALU_DEP_1)
	v_lshrrev_b32_e32 v2, 27, v2
	v_add_nc_u32_e32 v2, v42, v2
	s_delay_alu instid0(VALU_DEP_1)
	v_ashrrev_i32_e32 v2, 5, v2
.LBB16_167:                             ;   in Loop: Header=BB16_78 Depth=2
	s_or_b32 exec_lo, exec_lo, s15
	s_delay_alu instid0(SALU_CYCLE_1)
	s_and_b32 s13, s14, exec_lo
.LBB16_168:                             ;   in Loop: Header=BB16_78 Depth=2
	s_or_b32 exec_lo, exec_lo, s43
	s_and_saveexec_b32 s15, s13
	s_cbranch_execz .LBB16_179
.LBB16_169:                             ;   in Loop: Header=BB16_78 Depth=2
	v_ashrrev_i32_e32 v3, 31, v113
	s_mov_b32 s13, exec_lo
	s_delay_alu instid0(VALU_DEP_1) | instskip(NEXT) | instid1(VALU_DEP_1)
	v_lshrrev_b32_e32 v3, 22, v3
	v_add_nc_u32_e32 v3, v113, v3
	s_delay_alu instid0(VALU_DEP_1) | instskip(NEXT) | instid1(VALU_DEP_1)
	v_dual_ashrrev_i32 v45, 10, v3 :: v_dual_ashrrev_i32 v3, 31, v42
	v_dual_sub_nc_u32 v43, v45, v2 :: v_dual_lshrrev_b32 v44, 27, v3
	s_delay_alu instid0(VALU_DEP_1)
	v_cmpx_lt_i32_e32 0, v43
	s_cbranch_execz .LBB16_173
; %bb.170:                              ;   in Loop: Header=BB16_78 Depth=2
	s_delay_alu instid0(VALU_DEP_2) | instskip(SKIP_2) | instid1(VALU_DEP_2)
	v_dual_add_nc_u32 v3, v42, v44 :: v_dual_lshlrev_b32 v2, 10, v2
	v_add_nc_u64_e32 v[24:25], 0x3e0, v[116:117]
	s_mov_b32 s14, 0
	v_and_b32_e32 v3, 0xffffffe0, v3
	s_delay_alu instid0(VALU_DEP_1) | instskip(NEXT) | instid1(VALU_DEP_1)
	v_sub_nc_u32_e32 v3, v42, v3
	v_add3_u32 v22, v103, v3, v2
	s_delay_alu instid0(VALU_DEP_1) | instskip(NEXT) | instid1(VALU_DEP_1)
	v_ashrrev_i32_e32 v23, 31, v22
	v_add_nc_u64_e32 v[2:3], v[22:23], v[118:119]
	v_add_nc_u64_e32 v[4:5], v[22:23], v[40:41]
	v_add_nc_u64_e32 v[40:41], v[24:25], v[22:23]
.LBB16_171:                             ;   Parent Loop BB16_73 Depth=1
                                        ;     Parent Loop BB16_78 Depth=2
                                        ; =>    This Inner Loop Header: Depth=3
	s_clause 0x1f
	flat_load_u8 v22, v[40:41] offset:-992 th:TH_LOAD_NT
	flat_load_u8 v23, v[40:41] offset:-960 th:TH_LOAD_NT
	;; [unrolled: 1-line block ×31, first 2 shown]
	flat_load_u8 v126, v[40:41] th:TH_LOAD_NT
	v_sub_nc_u32_e32 v43, v43, v50
	s_wait_xcnt 0x0
	v_add_nc_u64_e32 v[40:41], v[40:41], v[66:67]
	s_wait_loadcnt_dscnt 0x1f1f
	flat_store_b8 v[2:3], v22 th:TH_STORE_NT
	s_wait_loadcnt_dscnt 0x1e1f
	flat_store_b8 v[2:3], v23 offset:32 th:TH_STORE_NT
	s_wait_loadcnt_dscnt 0x1d1f
	flat_store_b8 v[2:3], v24 offset:64 th:TH_STORE_NT
	;; [unrolled: 2-line block ×31, first 2 shown]
	s_clause 0x1f
	flat_store_b8 v[4:5], v22 th:TH_STORE_NT
	flat_store_b8 v[4:5], v23 offset:32 th:TH_STORE_NT
	flat_store_b8 v[4:5], v24 offset:64 th:TH_STORE_NT
	;; [unrolled: 1-line block ×31, first 2 shown]
	v_cmp_gt_i32_e32 vcc_lo, 1, v43
	s_wait_xcnt 0x20
	v_add_nc_u64_e32 v[2:3], v[2:3], v[66:67]
	s_wait_xcnt 0x0
	v_add_nc_u64_e32 v[4:5], v[4:5], v[66:67]
	s_or_b32 s14, vcc_lo, s14
	s_delay_alu instid0(SALU_CYCLE_1)
	s_and_not1_b32 exec_lo, exec_lo, s14
	s_cbranch_execnz .LBB16_171
; %bb.172:                              ;   in Loop: Header=BB16_78 Depth=2
	s_or_b32 exec_lo, exec_lo, s14
.LBB16_173:                             ;   in Loop: Header=BB16_78 Depth=2
	s_delay_alu instid0(SALU_CYCLE_1) | instskip(SKIP_1) | instid1(VALU_DEP_1)
	s_or_b32 exec_lo, exec_lo, s13
	v_lshlrev_b32_e32 v2, 10, v45
	v_cmp_ne_u32_e32 vcc_lo, v113, v2
	s_and_b32 exec_lo, exec_lo, vcc_lo
	s_cbranch_execz .LBB16_179
; %bb.174:                              ;   in Loop: Header=BB16_78 Depth=2
	v_dual_add_nc_u32 v3, v42, v44 :: v_dual_lshlrev_b32 v4, 5, v43
	s_delay_alu instid0(VALU_DEP_1) | instskip(NEXT) | instid1(VALU_DEP_1)
	v_and_b32_e32 v3, 0xffffffe0, v3
	v_sub_nc_u32_e32 v3, v42, v3
	s_delay_alu instid0(VALU_DEP_1) | instskip(NEXT) | instid1(VALU_DEP_1)
	v_sub_nc_u32_e32 v3, v3, v4
	v_add_nc_u32_e32 v2, v2, v3
	s_delay_alu instid0(VALU_DEP_1) | instskip(NEXT) | instid1(VALU_DEP_1)
	v_sub_nc_u32_e32 v113, v113, v2
	v_cmp_lt_i32_e32 vcc_lo, 0, v113
	s_and_b32 exec_lo, exec_lo, vcc_lo
	s_cbranch_execz .LBB16_179
; %bb.175:                              ;   in Loop: Header=BB16_78 Depth=2
	s_trap 2
	ds_load_b64 v[4:5], v0
	ds_load_b128 v[22:25], v0
	v_add_nc_u32_e32 v40, v2, v103
	s_mov_b32 s43, 0
	s_delay_alu instid0(VALU_DEP_1) | instskip(SKIP_1) | instid1(VALU_DEP_1)
	v_ashrrev_i32_e32 v41, 31, v40
	s_wait_dscnt 0x1
	v_add_nc_u64_e32 v[2:3], v[4:5], v[40:41]
	s_wait_dscnt 0x0
	v_add_nc_u64_e32 v[4:5], v[22:23], v[40:41]
	v_add_nc_u64_e32 v[40:41], v[24:25], v[40:41]
.LBB16_176:                             ;   Parent Loop BB16_73 Depth=1
                                        ;     Parent Loop BB16_78 Depth=2
                                        ; =>    This Loop Header: Depth=3
                                        ;         Child Loop BB16_177 Depth 4
	flat_load_u8 v103, v[2:3] th:TH_LOAD_NT
	s_mov_b64 s[16:17], 0
	s_mov_b32 s44, -1
.LBB16_177:                             ;   Parent Loop BB16_73 Depth=1
                                        ;     Parent Loop BB16_78 Depth=2
                                        ;       Parent Loop BB16_176 Depth=3
                                        ; =>      This Inner Loop Header: Depth=4
	s_cmp_eq_u32 s16, 1
	s_cselect_b32 vcc_lo, -1, 0
	s_cmp_eq_u32 s16, 0
	s_wait_xcnt 0x0
	v_dual_cndmask_b32 v23, v5, v41 :: v_dual_cndmask_b32 v22, v4, v40
	s_cselect_b32 s13, -1, 0
	s_and_b32 s14, exec_lo, s44
	s_mov_b64 s[16:17], 1
	s_mov_b32 s44, 0
	v_add_nc_u64_e32 v[24:25], 32, v[22:23]
	s_wait_loadcnt_dscnt 0x0
	flat_store_b8 v[22:23], v103 th:TH_STORE_NT
	v_dual_cndmask_b32 v41, v41, v25 :: v_dual_cndmask_b32 v40, v40, v24
	v_dual_cndmask_b32 v5, v5, v25, s13 :: v_dual_cndmask_b32 v4, v4, v24, s13
	s_mov_b32 vcc_lo, s14
	s_cbranch_vccnz .LBB16_177
; %bb.178:                              ;   in Loop: Header=BB16_176 Depth=3
	v_sub_nc_u32_e32 v113, v113, v57
	s_delay_alu instid0(VALU_DEP_2)
	v_add_nc_u64_e32 v[4:5], v[4:5], v[68:69]
	v_add_nc_u64_e32 v[40:41], v[40:41], v[68:69]
	s_wait_xcnt 0x1
	v_add_nc_u64_e32 v[2:3], v[84:85], v[2:3]
	v_cmp_gt_i32_e32 vcc_lo, 1, v113
	s_or_b32 s43, vcc_lo, s43
	s_wait_xcnt 0x0
	s_and_not1_b32 exec_lo, exec_lo, s43
	s_cbranch_execnz .LBB16_176
.LBB16_179:                             ;   in Loop: Header=BB16_78 Depth=2
	s_or_b32 exec_lo, exec_lo, s15
	s_mov_b32 s13, 0
.LBB16_180:                             ;   in Loop: Header=BB16_78 Depth=2
	s_delay_alu instid0(SALU_CYCLE_1)
	s_and_b32 vcc_lo, exec_lo, s13
	s_cbranch_vccz .LBB16_209
; %bb.181:                              ;   in Loop: Header=BB16_78 Depth=2
	s_mov_b32 s13, -1
	s_and_saveexec_b32 s14, s6
	s_cbranch_execz .LBB16_183
; %bb.182:                              ;   in Loop: Header=BB16_78 Depth=2
	ds_load_b32 v2, v0 offset:720
	s_wait_dscnt 0x0
	v_and_b32_e32 v2, 15, v2
	s_delay_alu instid0(VALU_DEP_1)
	v_cmp_eq_u32_e32 vcc_lo, 0, v2
	s_or_not1_b32 s13, vcc_lo, exec_lo
.LBB16_183:                             ;   in Loop: Header=BB16_78 Depth=2
	s_or_b32 exec_lo, exec_lo, s14
	s_and_saveexec_b32 s14, s6
	s_cbranch_execz .LBB16_185
; %bb.184:                              ;   in Loop: Header=BB16_78 Depth=2
	ds_load_b32 v2, v0 offset:784
	s_wait_dscnt 0x0
	v_and_b32_e32 v2, 15, v2
	s_delay_alu instid0(VALU_DEP_1) | instskip(SKIP_3) | instid1(SALU_CYCLE_1)
	v_cmp_eq_u32_e32 vcc_lo, 0, v2
	s_and_b32 s15, s13, vcc_lo
	s_and_not1_b32 s13, s13, exec_lo
	s_and_b32 s15, s15, exec_lo
	s_or_b32 s13, s13, s15
.LBB16_185:                             ;   in Loop: Header=BB16_78 Depth=2
	s_or_b32 exec_lo, exec_lo, s14
	s_xor_b32 s13, s13, -1
	v_dual_mov_b32 v4, 0 :: v_dual_mov_b32 v5, v48
	v_cndmask_b32_e64 v2, 0, 1, s13
	v_mov_b32_e32 v103, v0
	s_mov_b32 s15, -1
	s_delay_alu instid0(VALU_DEP_2)
	v_cmp_ne_u32_e32 vcc_lo, 0, v2
	v_mov_b32_e32 v2, v61
	s_cbranch_vccz .LBB16_187
; %bb.186:                              ;   in Loop: Header=BB16_78 Depth=2
	s_and_saveexec_b32 s13, s15
	s_cbranch_execnz .LBB16_200
	s_branch .LBB16_208
.LBB16_187:                             ;   in Loop: Header=BB16_78 Depth=2
	v_ashrrev_i32_e32 v2, 31, v48
	s_mov_b32 s13, exec_lo
	s_delay_alu instid0(VALU_DEP_1) | instskip(NEXT) | instid1(VALU_DEP_1)
	v_lshrrev_b32_e32 v2, 20, v2
	v_add_nc_u32_e32 v2, v48, v2
	s_delay_alu instid0(VALU_DEP_1) | instskip(NEXT) | instid1(VALU_DEP_1)
	v_ashrrev_i32_e32 v103, 12, v2
	v_sub_nc_u32_e32 v40, v103, v61
	s_delay_alu instid0(VALU_DEP_1)
	v_cmpx_lt_i32_e32 0, v40
	s_cbranch_execz .LBB16_191
; %bb.188:                              ;   in Loop: Header=BB16_78 Depth=2
	v_mov_b64_e32 v[2:3], v[118:119]
	v_mov_b64_e32 v[4:5], v[116:117]
	s_mov_b32 s14, 0
.LBB16_189:                             ;   Parent Loop BB16_73 Depth=1
                                        ;     Parent Loop BB16_78 Depth=2
                                        ; =>    This Inner Loop Header: Depth=3
	s_delay_alu instid0(VALU_DEP_1) | instskip(SKIP_1) | instid1(VALU_DEP_4)
	v_add_nc_u64_e32 v[22:23], v[96:97], v[4:5]
	v_sub_nc_u32_e32 v40, v40, v50
	v_add_nc_u64_e32 v[46:47], v[96:97], v[2:3]
	v_add_nc_u64_e32 v[4:5], v[4:5], v[70:71]
	;; [unrolled: 1-line block ×3, first 2 shown]
	s_clause 0x7
	global_load_b128 v[42:45], v[22:23], off th:TH_LOAD_NT
	global_load_b128 v[74:77], v[22:23], off offset:512 th:TH_LOAD_NT
	global_load_b128 v[88:91], v[22:23], off offset:1024 th:TH_LOAD_NT
	;; [unrolled: 1-line block ×7, first 2 shown]
	v_cmp_gt_i32_e32 vcc_lo, 1, v40
	s_wait_loadcnt 0x7
	global_store_b128 v[46:47], v[42:45], off th:TH_STORE_NT
	s_wait_loadcnt 0x6
	global_store_b128 v[46:47], v[74:77], off offset:512 th:TH_STORE_NT
	s_wait_loadcnt 0x5
	global_store_b128 v[46:47], v[88:91], off offset:1024 th:TH_STORE_NT
	;; [unrolled: 2-line block ×7, first 2 shown]
	s_or_b32 s14, vcc_lo, s14
	s_wait_xcnt 0x0
	s_and_not1_b32 exec_lo, exec_lo, s14
	s_cbranch_execnz .LBB16_189
; %bb.190:                              ;   in Loop: Header=BB16_78 Depth=2
	s_or_b32 exec_lo, exec_lo, s14
.LBB16_191:                             ;   in Loop: Header=BB16_78 Depth=2
	s_delay_alu instid0(SALU_CYCLE_1) | instskip(SKIP_3) | instid1(VALU_DEP_1)
	s_or_b32 exec_lo, exec_lo, s13
	v_dual_mov_b32 v4, 0 :: v_dual_lshlrev_b32 v113, 12, v103
	s_mov_b32 s15, 0
	s_mov_b32 s14, exec_lo
                                        ; implicit-def: $vgpr5
                                        ; implicit-def: $vgpr103
                                        ; implicit-def: $vgpr2
	v_cmpx_ne_u32_e64 v48, v113
	s_cbranch_execz .LBB16_199
; %bb.192:                              ;   in Loop: Header=BB16_78 Depth=2
	v_dual_lshlrev_b32 v2, 5, v40 :: v_dual_sub_nc_u32 v4, v48, v113
	s_mov_b32 s15, exec_lo
	s_delay_alu instid0(VALU_DEP_1) | instskip(NEXT) | instid1(VALU_DEP_1)
	v_dual_sub_nc_u32 v2, v62, v2 :: v_dual_ashrrev_i32 v5, 31, v4
	v_dual_ashrrev_i32 v3, 31, v2 :: v_dual_lshrrev_b32 v5, 23, v5
	s_delay_alu instid0(VALU_DEP_1) | instskip(NEXT) | instid1(VALU_DEP_1)
	v_lshrrev_b32_e32 v3, 27, v3
	v_add_nc_u32_e32 v3, v2, v3
	s_delay_alu instid0(VALU_DEP_1) | instskip(NEXT) | instid1(VALU_DEP_1)
	v_and_b32_e32 v22, 0xffffffe0, v3
	v_dual_add_nc_u32 v5, v4, v5 :: v_dual_sub_nc_u32 v41, v2, v22
	s_delay_alu instid0(VALU_DEP_1) | instskip(SKIP_1) | instid1(VALU_DEP_2)
	v_and_b32_e32 v40, 0xfffffe00, v5
	v_dual_ashrrev_i32 v3, 5, v3 :: v_dual_ashrrev_i32 v5, 9, v5
	v_dual_lshlrev_b32 v2, 4, v41 :: v_dual_sub_nc_u32 v42, v4, v40
	s_delay_alu instid0(VALU_DEP_1) | instskip(NEXT) | instid1(VALU_DEP_2)
	v_lshl_add_u32 v2, v3, 9, v2
	v_cmp_lt_i32_e32 vcc_lo, 15, v42
	s_delay_alu instid0(VALU_DEP_4) | instskip(NEXT) | instid1(VALU_DEP_1)
	v_add_co_ci_u32_e64 v5, null, 0, v5, vcc_lo
	v_dual_sub_nc_u32 v4, v4, v2 :: v_dual_sub_nc_u32 v43, v5, v3
	s_delay_alu instid0(VALU_DEP_1)
	v_cmpx_lt_i32_e32 15, v4
	s_cbranch_execz .LBB16_196
; %bb.193:                              ;   in Loop: Header=BB16_78 Depth=2
	v_add_nc_u32_e32 v2, v2, v113
	s_mov_b32 s16, 0
	s_delay_alu instid0(VALU_DEP_1)
	v_ashrrev_i32_e32 v3, 31, v2
.LBB16_194:                             ;   Parent Loop BB16_73 Depth=1
                                        ;     Parent Loop BB16_78 Depth=2
                                        ; =>    This Inner Loop Header: Depth=3
	s_delay_alu instid0(VALU_DEP_1) | instskip(SKIP_3) | instid1(VALU_DEP_3)
	v_add_nc_u64_e32 v[22:23], v[116:117], v[2:3]
	v_dual_sub_nc_u32 v4, v4, v60 :: v_dual_sub_nc_u32 v43, v43, v50
	v_add_nc_u64_e32 v[44:45], v[118:119], v[2:3]
	v_add_nc_u64_e32 v[2:3], v[2:3], v[86:87]
	v_cmp_gt_i32_e64 s13, 16, v4
	global_load_b128 v[22:25], v[22:23], off th:TH_LOAD_NT
	s_or_b32 s16, s13, s16
	s_wait_loadcnt 0x0
	global_store_b128 v[44:45], v[22:25], off th:TH_STORE_NT
	s_wait_xcnt 0x0
	s_and_not1_b32 exec_lo, exec_lo, s16
	s_cbranch_execnz .LBB16_194
; %bb.195:                              ;   in Loop: Header=BB16_78 Depth=2
	s_or_b32 exec_lo, exec_lo, s16
.LBB16_196:                             ;   in Loop: Header=BB16_78 Depth=2
	s_delay_alu instid0(SALU_CYCLE_1) | instskip(SKIP_3) | instid1(VALU_DEP_1)
	s_or_b32 exec_lo, exec_lo, s15
	v_dual_mov_b32 v4, 0 :: v_dual_bitop2_b32 v3, 15, v48 bitop3:0x40
	s_mov_b32 s15, 0
	s_mov_b32 s16, exec_lo
                                        ; implicit-def: $vgpr103
                                        ; implicit-def: $vgpr2
	v_cndmask_b32_e32 v5, v42, v3, vcc_lo
	s_delay_alu instid0(VALU_DEP_1)
	v_cmpx_ne_u32_e32 0, v5
	s_cbranch_execz .LBB16_198
; %bb.197:                              ;   in Loop: Header=BB16_78 Depth=2
	v_cmp_lt_i32_e64 s13, 0, v43
	s_mov_b32 s15, exec_lo
	v_dual_sub_nc_u32 v3, v42, v3 :: v_dual_cndmask_b32 v2, 0, v50, s13
	s_delay_alu instid0(VALU_DEP_1) | instskip(NEXT) | instid1(VALU_DEP_2)
	v_cndmask_b32_e32 v3, 0, v3, vcc_lo
	v_sub_nc_u32_e32 v2, v2, v43
	s_delay_alu instid0(VALU_DEP_2) | instskip(NEXT) | instid1(VALU_DEP_2)
	v_add3_u32 v4, v40, v113, v3
	v_lshl_add_u32 v103, v2, 5, v41
	s_delay_alu instid0(VALU_DEP_1) | instskip(NEXT) | instid1(VALU_DEP_1)
	v_ashrrev_i32_e32 v2, 31, v103
	v_lshrrev_b32_e32 v2, 27, v2
	s_delay_alu instid0(VALU_DEP_1) | instskip(NEXT) | instid1(VALU_DEP_1)
	v_add_nc_u32_e32 v2, v103, v2
	v_ashrrev_i32_e32 v2, 5, v2
.LBB16_198:                             ;   in Loop: Header=BB16_78 Depth=2
	s_or_b32 exec_lo, exec_lo, s16
	s_delay_alu instid0(SALU_CYCLE_1)
	s_and_b32 s15, s15, exec_lo
.LBB16_199:                             ;   in Loop: Header=BB16_78 Depth=2
	s_or_b32 exec_lo, exec_lo, s14
	s_and_saveexec_b32 s13, s15
	s_cbranch_execz .LBB16_208
.LBB16_200:                             ;   in Loop: Header=BB16_78 Depth=2
	v_ashrrev_i32_e32 v3, 31, v5
	s_mov_b32 s14, exec_lo
	s_delay_alu instid0(VALU_DEP_1) | instskip(NEXT) | instid1(VALU_DEP_1)
	v_lshrrev_b32_e32 v3, 22, v3
	v_add_nc_u32_e32 v3, v5, v3
	s_delay_alu instid0(VALU_DEP_1) | instskip(NEXT) | instid1(VALU_DEP_1)
	v_ashrrev_i32_e32 v40, 10, v3
	v_sub_nc_u32_e32 v113, v40, v2
	s_delay_alu instid0(VALU_DEP_1)
	v_cmpx_lt_i32_e32 0, v113
	s_cbranch_execz .LBB16_204
; %bb.201:                              ;   in Loop: Header=BB16_78 Depth=2
	v_dual_ashrrev_i32 v3, 31, v103 :: v_dual_lshlrev_b32 v2, 10, v2
	s_mov_b32 s15, 0
	s_delay_alu instid0(VALU_DEP_1) | instskip(NEXT) | instid1(VALU_DEP_1)
	v_lshrrev_b32_e32 v3, 27, v3
	v_add_nc_u32_e32 v3, v103, v3
	s_delay_alu instid0(VALU_DEP_1) | instskip(NEXT) | instid1(VALU_DEP_1)
	v_and_b32_e32 v3, 0xffffffe0, v3
	v_sub_nc_u32_e32 v3, v103, v3
	s_delay_alu instid0(VALU_DEP_1) | instskip(NEXT) | instid1(VALU_DEP_1)
	v_add3_u32 v2, v4, v3, v2
	v_ashrrev_i32_e32 v3, 31, v2
.LBB16_202:                             ;   Parent Loop BB16_73 Depth=1
                                        ;     Parent Loop BB16_78 Depth=2
                                        ; =>    This Inner Loop Header: Depth=3
	s_delay_alu instid0(VALU_DEP_1)
	v_add_nc_u64_e32 v[22:23], v[2:3], v[116:117]
	v_sub_nc_u32_e32 v113, v113, v50
	v_add_nc_u64_e32 v[116:117], v[116:117], v[66:67]
	s_clause 0x1f
	flat_load_u8 v24, v[22:23] th:TH_LOAD_NT
	flat_load_u8 v25, v[22:23] offset:32 th:TH_LOAD_NT
	flat_load_u8 v41, v[22:23] offset:64 th:TH_LOAD_NT
	;; [unrolled: 1-line block ×31, first 2 shown]
	s_wait_xcnt 0x0
	v_add_nc_u64_e32 v[22:23], v[2:3], v[118:119]
	v_add_nc_u64_e32 v[118:119], v[118:119], v[66:67]
	v_cmp_gt_i32_e32 vcc_lo, 1, v113
	s_wait_loadcnt_dscnt 0x1f1f
	flat_store_b8 v[22:23], v24 th:TH_STORE_NT
	s_wait_loadcnt_dscnt 0x1e1f
	flat_store_b8 v[22:23], v25 offset:32 th:TH_STORE_NT
	s_wait_loadcnt_dscnt 0x1d1f
	flat_store_b8 v[22:23], v41 offset:64 th:TH_STORE_NT
	;; [unrolled: 2-line block ×31, first 2 shown]
	s_or_b32 s15, vcc_lo, s15
	s_wait_xcnt 0x0
	s_and_not1_b32 exec_lo, exec_lo, s15
	s_cbranch_execnz .LBB16_202
; %bb.203:                              ;   in Loop: Header=BB16_78 Depth=2
	s_or_b32 exec_lo, exec_lo, s15
.LBB16_204:                             ;   in Loop: Header=BB16_78 Depth=2
	s_delay_alu instid0(SALU_CYCLE_1) | instskip(SKIP_1) | instid1(VALU_DEP_1)
	s_or_b32 exec_lo, exec_lo, s14
	v_lshlrev_b32_e32 v2, 10, v40
	v_cmp_ne_u32_e32 vcc_lo, v5, v2
	s_and_b32 exec_lo, exec_lo, vcc_lo
	s_cbranch_execz .LBB16_208
; %bb.205:                              ;   in Loop: Header=BB16_78 Depth=2
	v_dual_ashrrev_i32 v3, 31, v103 :: v_dual_lshlrev_b32 v22, 5, v113
	s_delay_alu instid0(VALU_DEP_1) | instskip(NEXT) | instid1(VALU_DEP_1)
	v_lshrrev_b32_e32 v3, 27, v3
	v_add_nc_u32_e32 v3, v103, v3
	s_delay_alu instid0(VALU_DEP_1) | instskip(NEXT) | instid1(VALU_DEP_1)
	v_and_b32_e32 v3, 0xffffffe0, v3
	v_sub_nc_u32_e32 v3, v103, v3
	s_delay_alu instid0(VALU_DEP_1) | instskip(NEXT) | instid1(VALU_DEP_1)
	v_sub_nc_u32_e32 v3, v3, v22
	v_add_nc_u32_e32 v113, v2, v3
	s_delay_alu instid0(VALU_DEP_1) | instskip(NEXT) | instid1(VALU_DEP_1)
	v_sub_nc_u32_e32 v103, v5, v113
	v_cmp_lt_i32_e32 vcc_lo, 0, v103
	s_and_b32 exec_lo, exec_lo, vcc_lo
	s_cbranch_execz .LBB16_208
; %bb.206:                              ;   in Loop: Header=BB16_78 Depth=2
	s_trap 2
	ds_load_b64 v[2:3], v0
	v_add_nc_u32_e32 v4, v113, v4
	s_mov_b32 s14, 0
	s_delay_alu instid0(VALU_DEP_1)
	v_ashrrev_i32_e32 v5, 31, v4
.LBB16_207:                             ;   Parent Loop BB16_73 Depth=1
                                        ;     Parent Loop BB16_78 Depth=2
                                        ; =>    This Inner Loop Header: Depth=3
	s_wait_dscnt 0x0
	s_delay_alu instid0(VALU_DEP_1) | instskip(SKIP_2) | instid1(VALU_DEP_2)
	v_add_nc_u64_e32 v[22:23], v[2:3], v[4:5]
	v_sub_nc_u32_e32 v103, v103, v57
	v_add_nc_u64_e32 v[4:5], v[4:5], v[84:85]
	v_cmp_gt_i32_e32 vcc_lo, 1, v103
	flat_load_u8 v24, v[22:23] th:TH_LOAD_NT
	s_or_b32 s14, vcc_lo, s14
	s_wait_loadcnt_dscnt 0x0
	flat_store_b8 v[22:23], v24 th:TH_STORE_NT
	s_wait_xcnt 0x0
	s_and_not1_b32 exec_lo, exec_lo, s14
	s_cbranch_execnz .LBB16_207
.LBB16_208:                             ;   in Loop: Header=BB16_78 Depth=2
	s_or_b32 exec_lo, exec_lo, s13
.LBB16_209:                             ;   in Loop: Header=BB16_78 Depth=2
	v_cmp_lt_i32_e64 s13, 0, v48
	s_and_saveexec_b32 s14, s1
	s_cbranch_execz .LBB16_150
.LBB16_210:                             ;   in Loop: Header=BB16_78 Depth=2
	s_and_saveexec_b32 s15, s2
	s_delay_alu instid0(SALU_CYCLE_1)
	s_xor_b32 s15, exec_lo, s15
	s_cbranch_execz .LBB16_225
; %bb.211:                              ;   in Loop: Header=BB16_78 Depth=2
	s_and_saveexec_b32 s16, s5
	s_cbranch_execz .LBB16_224
; %bb.212:                              ;   in Loop: Header=BB16_78 Depth=2
	s_mov_b32 s43, exec_lo
	s_mov_b32 s17, exec_lo
	v_mbcnt_lo_u32_b32 v2, s43, 0
	global_wb scope:SCOPE_DEV
	s_wait_storecnt 0x0
	s_wait_loadcnt_dscnt 0x0
	global_inv scope:SCOPE_DEV
	v_cmpx_eq_u32_e32 0, v2
	s_cbranch_execz .LBB16_214
; %bb.213:                              ;   in Loop: Header=BB16_78 Depth=2
	s_bcnt1_i32_b32 s43, s43
	s_delay_alu instid0(SALU_CYCLE_1)
	v_mov_b32_e32 v48, s43
	s_wait_loadcnt 0x0
	ds_add_u64 v0, v[48:49]
	s_trap 2
.LBB16_214:                             ;   in Loop: Header=BB16_78 Depth=2
	s_or_b32 exec_lo, exec_lo, s17
	s_trap 2
	ds_load_b64 v[2:3], v0
	s_wait_dscnt 0x0
	v_add_nc_u64_e32 v[14:15], v[14:15], v[50:51]
	s_mov_b32 s17, exec_lo
	s_delay_alu instid0(VALU_DEP_1)
	v_cmpx_lt_u64_e64 v[2:3], v[14:15]
	s_cbranch_execz .LBB16_223
; %bb.215:                              ;   in Loop: Header=BB16_78 Depth=2
	s_mov_b32 s43, 0
	s_mov_b32 s46, 0
                                        ; implicit-def: $sgpr44
                                        ; implicit-def: $sgpr45
	s_branch .LBB16_217
.LBB16_216:                             ;   in Loop: Header=BB16_217 Depth=3
	s_or_b32 exec_lo, exec_lo, s56
	s_delay_alu instid0(SALU_CYCLE_1) | instskip(NEXT) | instid1(SALU_CYCLE_1)
	s_and_b32 s47, exec_lo, s57
	s_or_b32 s43, s47, s43
	s_and_not1_b32 s44, s44, exec_lo
	s_and_b32 s47, s45, exec_lo
	s_delay_alu instid0(SALU_CYCLE_1)
	s_or_b32 s44, s44, s47
	s_and_not1_b32 exec_lo, exec_lo, s43
	s_cbranch_execz .LBB16_221
.LBB16_217:                             ;   Parent Loop BB16_73 Depth=1
                                        ;     Parent Loop BB16_78 Depth=2
                                        ; =>    This Inner Loop Header: Depth=3
	s_add_co_i32 s46, s46, 1
	s_delay_alu instid0(SALU_CYCLE_1) | instskip(SKIP_1) | instid1(SALU_CYCLE_1)
	s_cmp_lg_u32 s46, 0x2710
	s_cselect_b32 s47, -1, 0
	s_and_b32 vcc_lo, exec_lo, s47
	s_cbranch_vccz .LBB16_219
; %bb.218:                              ;   in Loop: Header=BB16_217 Depth=3
	s_mov_b32 s57, -1
	s_or_b32 s45, s45, exec_lo
	s_and_saveexec_b32 s56, s47
	s_cbranch_execz .LBB16_216
	s_branch .LBB16_220
.LBB16_219:                             ;   in Loop: Header=BB16_217 Depth=3
	s_trap 2
	ds_load_b64 v[2:3], v0
	s_and_not1_b32 s47, s47, exec_lo
	s_mov_b32 s46, 0
	s_wait_loadcnt_dscnt 0x0
	flat_load_b32 v2, v[2:3] scope:SCOPE_SYS
	s_wait_loadcnt_dscnt 0x0
	global_inv scope:SCOPE_SYS
	v_cmp_eq_u32_e32 vcc_lo, 0, v2
	s_and_b32 s56, vcc_lo, exec_lo
	s_delay_alu instid0(SALU_CYCLE_1)
	s_or_b32 s47, s47, s56
	s_mov_b32 s57, -1
	s_or_b32 s45, s45, exec_lo
	s_and_saveexec_b32 s56, s47
	s_cbranch_execz .LBB16_216
.LBB16_220:                             ;   in Loop: Header=BB16_217 Depth=3
	s_sleep 1
	s_trap 2
	ds_load_b64 v[2:3], v0
	s_wait_dscnt 0x0
	s_and_not1_b32 s45, s45, exec_lo
	v_cmp_ge_u64_e32 vcc_lo, v[2:3], v[14:15]
	s_or_not1_b32 s57, vcc_lo, exec_lo
	s_branch .LBB16_216
.LBB16_221:                             ;   in Loop: Header=BB16_78 Depth=2
	s_or_b32 exec_lo, exec_lo, s43
	s_and_saveexec_b32 s43, s44
	s_delay_alu instid0(SALU_CYCLE_1)
	s_xor_b32 s43, exec_lo, s43
	s_cbranch_execz .LBB16_223
; %bb.222:                              ;   in Loop: Header=BB16_78 Depth=2
	ds_store_b32 v0, v58
	s_trap 2
.LBB16_223:                             ;   in Loop: Header=BB16_78 Depth=2
	s_or_b32 exec_lo, exec_lo, s17
	;;#ASMSTART
	s_wakeup
	;;#ASMEND
.LBB16_224:                             ;   in Loop: Header=BB16_78 Depth=2
	s_or_b32 exec_lo, exec_lo, s16
.LBB16_225:                             ;   in Loop: Header=BB16_78 Depth=2
	s_and_not1_saveexec_b32 s15, s15
	s_cbranch_execz .LBB16_227
; %bb.226:                              ;   in Loop: Header=BB16_78 Depth=2
	global_wb scope:SCOPE_DEV
	s_wait_storecnt 0x0
	s_wait_loadcnt_dscnt 0x0
	global_inv scope:SCOPE_DEV
	s_barrier_signal -1
	s_barrier_wait -1
.LBB16_227:                             ;   in Loop: Header=BB16_78 Depth=2
	s_or_b32 exec_lo, exec_lo, s15
	s_delay_alu instid0(SALU_CYCLE_1) | instskip(SKIP_1) | instid1(SALU_CYCLE_1)
	s_or_b32 exec_lo, exec_lo, s14
                                        ; implicit-def: $vgpr2
	s_and_saveexec_b32 s14, s10
	s_xor_b32 s14, exec_lo, s14
	s_cbranch_execnz .LBB16_151
.LBB16_228:                             ;   in Loop: Header=BB16_78 Depth=2
	s_and_not1_saveexec_b32 s13, s14
	s_cbranch_execz .LBB16_247
.LBB16_229:                             ;   in Loop: Header=BB16_78 Depth=2
	s_and_saveexec_b32 s14, s2
	s_delay_alu instid0(SALU_CYCLE_1)
	s_xor_b32 s14, exec_lo, s14
	s_cbranch_execz .LBB16_244
; %bb.230:                              ;   in Loop: Header=BB16_78 Depth=2
	s_and_saveexec_b32 s15, s5
	s_cbranch_execz .LBB16_243
; %bb.231:                              ;   in Loop: Header=BB16_78 Depth=2
	s_mov_b32 s17, exec_lo
	s_mov_b32 s16, exec_lo
	v_mbcnt_lo_u32_b32 v2, s17, 0
	;;#ASMSTART
	s_waitcnt lgkmcnt(0) vmcnt(0)
	;;#ASMEND
	s_delay_alu instid0(VALU_DEP_1)
	v_cmpx_eq_u32_e32 0, v2
	s_cbranch_execz .LBB16_233
; %bb.232:                              ;   in Loop: Header=BB16_78 Depth=2
	s_bcnt1_i32_b32 s17, s17
	s_delay_alu instid0(SALU_CYCLE_1)
	v_mov_b32_e32 v48, s17
	s_wait_storecnt 0x0
	s_wait_loadcnt_dscnt 0x0
	ds_add_u64 v0, v[48:49]
	s_trap 2
.LBB16_233:                             ;   in Loop: Header=BB16_78 Depth=2
	s_or_b32 exec_lo, exec_lo, s16
	s_trap 2
	ds_load_b64 v[2:3], v0
	s_wait_dscnt 0x0
	v_add_nc_u64_e32 v[14:15], v[14:15], v[50:51]
	s_mov_b32 s16, exec_lo
	s_delay_alu instid0(VALU_DEP_1)
	v_cmpx_lt_u64_e64 v[2:3], v[14:15]
	s_cbranch_execz .LBB16_242
; %bb.234:                              ;   in Loop: Header=BB16_78 Depth=2
	s_mov_b32 s17, 0
	s_mov_b32 s45, 0
                                        ; implicit-def: $sgpr43
                                        ; implicit-def: $sgpr44
	s_branch .LBB16_236
.LBB16_235:                             ;   in Loop: Header=BB16_236 Depth=3
	s_or_b32 exec_lo, exec_lo, s47
	s_delay_alu instid0(SALU_CYCLE_1) | instskip(NEXT) | instid1(SALU_CYCLE_1)
	s_and_b32 s46, exec_lo, s56
	s_or_b32 s17, s46, s17
	s_and_not1_b32 s43, s43, exec_lo
	s_and_b32 s46, s44, exec_lo
	s_delay_alu instid0(SALU_CYCLE_1)
	s_or_b32 s43, s43, s46
	s_and_not1_b32 exec_lo, exec_lo, s17
	s_cbranch_execz .LBB16_240
.LBB16_236:                             ;   Parent Loop BB16_73 Depth=1
                                        ;     Parent Loop BB16_78 Depth=2
                                        ; =>    This Inner Loop Header: Depth=3
	s_add_co_i32 s45, s45, 1
	s_delay_alu instid0(SALU_CYCLE_1) | instskip(SKIP_1) | instid1(SALU_CYCLE_1)
	s_cmp_lg_u32 s45, 0x2710
	s_cselect_b32 s46, -1, 0
	s_and_b32 vcc_lo, exec_lo, s46
	s_cbranch_vccz .LBB16_238
; %bb.237:                              ;   in Loop: Header=BB16_236 Depth=3
	s_mov_b32 s56, -1
	s_or_b32 s44, s44, exec_lo
	s_and_saveexec_b32 s47, s46
	s_cbranch_execz .LBB16_235
	s_branch .LBB16_239
.LBB16_238:                             ;   in Loop: Header=BB16_236 Depth=3
	s_trap 2
	ds_load_b64 v[2:3], v0
	s_and_not1_b32 s46, s46, exec_lo
	s_mov_b32 s45, 0
	s_wait_storecnt 0x0
	s_wait_loadcnt_dscnt 0x0
	flat_load_b32 v2, v[2:3] scope:SCOPE_SYS
	s_wait_loadcnt_dscnt 0x0
	global_inv scope:SCOPE_SYS
	v_cmp_eq_u32_e32 vcc_lo, 0, v2
	s_and_b32 s47, vcc_lo, exec_lo
	s_delay_alu instid0(SALU_CYCLE_1)
	s_or_b32 s46, s46, s47
	s_mov_b32 s56, -1
	s_or_b32 s44, s44, exec_lo
	s_and_saveexec_b32 s47, s46
	s_cbranch_execz .LBB16_235
.LBB16_239:                             ;   in Loop: Header=BB16_236 Depth=3
	s_sleep 1
	s_trap 2
	ds_load_b64 v[2:3], v0
	s_wait_dscnt 0x0
	s_and_not1_b32 s44, s44, exec_lo
	v_cmp_ge_u64_e32 vcc_lo, v[2:3], v[14:15]
	s_or_not1_b32 s56, vcc_lo, exec_lo
	s_branch .LBB16_235
.LBB16_240:                             ;   in Loop: Header=BB16_78 Depth=2
	s_or_b32 exec_lo, exec_lo, s17
	s_and_saveexec_b32 s17, s43
	s_delay_alu instid0(SALU_CYCLE_1)
	s_xor_b32 s17, exec_lo, s17
	s_cbranch_execz .LBB16_242
; %bb.241:                              ;   in Loop: Header=BB16_78 Depth=2
	ds_store_b32 v0, v58
	s_trap 2
.LBB16_242:                             ;   in Loop: Header=BB16_78 Depth=2
	s_or_b32 exec_lo, exec_lo, s16
	;;#ASMSTART
	s_wakeup
	;;#ASMEND
.LBB16_243:                             ;   in Loop: Header=BB16_78 Depth=2
	s_or_b32 exec_lo, exec_lo, s15
.LBB16_244:                             ;   in Loop: Header=BB16_78 Depth=2
	s_and_not1_saveexec_b32 s14, s14
	s_cbranch_execz .LBB16_246
; %bb.245:                              ;   in Loop: Header=BB16_78 Depth=2
	;;#ASMSTART
	s_waitcnt lgkmcnt(0) vmcnt(0)
	;;#ASMEND
	s_barrier_signal -1
	s_barrier_wait -1
.LBB16_246:                             ;   in Loop: Header=BB16_78 Depth=2
	s_or_b32 exec_lo, exec_lo, s14
	v_and_b32_e32 v2, 16, v30
.LBB16_247:                             ;   in Loop: Header=BB16_78 Depth=2
	s_or_b32 exec_lo, exec_lo, s13
	s_delay_alu instid0(SALU_CYCLE_1) | instskip(NEXT) | instid1(VALU_DEP_1)
	s_mov_b32 s13, exec_lo
	v_cmpx_ne_u32_e32 0, v2
	s_cbranch_execz .LBB16_77
; %bb.248:                              ;   in Loop: Header=BB16_78 Depth=2
	s_and_saveexec_b32 s14, s4
	s_cbranch_execz .LBB16_76
; %bb.249:                              ;   in Loop: Header=BB16_78 Depth=2
	global_wb scope:SCOPE_SYS
	s_wait_storecnt 0x0
	s_wait_loadcnt_dscnt 0x0
	flat_store_b32 v[34:35], v58 scope:SCOPE_SYS
	s_branch .LBB16_76
.LBB16_250:                             ;   in Loop: Header=BB16_73 Depth=1
	s_and_not1_saveexec_b32 s14, s28
	s_cbranch_execz .LBB16_538
.LBB16_251:                             ;   in Loop: Header=BB16_73 Depth=1
	v_dual_mov_b32 v3, 0 :: v_dual_mov_b32 v4, v72
	v_mov_b32_e32 v2, 0
	s_and_saveexec_b32 s15, s12
	s_cbranch_execz .LBB16_465
; %bb.252:                              ;   in Loop: Header=BB16_73 Depth=1
	v_dual_mov_b32 v2, 0 :: v_dual_mov_b32 v4, v72
	s_mov_b32 s28, 1
	s_mov_b32 s17, -1
	s_mov_b32 s16, 0
	s_branch .LBB16_255
.LBB16_253:                             ;   in Loop: Header=BB16_255 Depth=2
	s_wait_xcnt 0x0
	s_or_b32 exec_lo, exec_lo, s29
	v_add_nc_u64_e32 v[98:99], 2, v[98:99]
	global_wb scope:SCOPE_SYS
	s_wait_storecnt 0x0
	s_wait_loadcnt_dscnt 0x0
	flat_store_b64 v[26:27], v[98:99] scope:SCOPE_SYS
.LBB16_254:                             ;   in Loop: Header=BB16_255 Depth=2
	s_wait_xcnt 0x0
	s_or_b32 exec_lo, exec_lo, s13
	v_dual_mov_b32 v3, s28 :: v_dual_add_nc_u32 v2, v4, v2
	s_xor_b32 s13, s17, -1
	s_mov_b32 s17, 0
	s_mov_b32 s28, 2
	s_delay_alu instid0(VALU_DEP_1) | instskip(SKIP_1) | instid1(SALU_CYCLE_1)
	v_cmp_ge_i32_e32 vcc_lo, v2, v63
	s_or_b32 s13, s13, vcc_lo
	s_and_b32 s13, exec_lo, s13
	s_delay_alu instid0(SALU_CYCLE_1) | instskip(NEXT) | instid1(SALU_CYCLE_1)
	s_or_b32 s16, s13, s16
	s_and_not1_b32 exec_lo, exec_lo, s16
	s_cbranch_execz .LBB16_464
.LBB16_255:                             ;   Parent Loop BB16_73 Depth=1
                                        ; =>  This Loop Header: Depth=2
                                        ;       Child Loop BB16_263 Depth 3
                                        ;       Child Loop BB16_287 Depth 3
	;; [unrolled: 1-line block ×9, first 2 shown]
	s_and_saveexec_b32 s13, s0
	s_cbranch_execz .LBB16_257
; %bb.256:                              ;   in Loop: Header=BB16_255 Depth=2
	s_trap 2
	ds_load_b64 v[22:23], v0
	v_ashrrev_i32_e32 v3, 31, v2
	v_mov_b64_e32 v[24:25], 0
	s_wait_dscnt 0x0
	v_add_nc_u64_e32 v[22:23], v[22:23], v[100:101]
	s_delay_alu instid0(VALU_DEP_1)
	v_add_nc_u64_e32 v[22:23], v[22:23], v[2:3]
	ds_store_b64 v0, v[22:23]
	ds_store_b64 v0, v[24:25]
.LBB16_257:                             ;   in Loop: Header=BB16_255 Depth=2
	s_or_b32 exec_lo, exec_lo, s13
	v_sub_nc_u32_e32 v3, v63, v2
	v_and_b32_e32 v5, 8, v30
	s_mov_b32 s29, exec_lo
	s_delay_alu instid0(VALU_DEP_2) | instskip(NEXT) | instid1(VALU_DEP_2)
	v_min_i32_e32 v4, v4, v3
	v_cmpx_ne_u32_e32 0, v5
	s_cbranch_execz .LBB16_279
; %bb.258:                              ;   in Loop: Header=BB16_255 Depth=2
	s_wait_loadcnt_dscnt 0x1
	v_add_nc_u64_e32 v[22:23], 8, v[36:37]
	v_add_nc_u64_e32 v[102:103], 2, v[98:99]
	s_mov_b32 s40, exec_lo
	s_delay_alu instid0(VALU_DEP_1)
	v_cmpx_lt_u64_e64 v[22:23], v[102:103]
	s_cbranch_execz .LBB16_270
; %bb.259:                              ;   in Loop: Header=BB16_255 Depth=2
	v_and_b32_e32 v3, 64, v30
	s_mov_b32 s41, 0
	s_mov_b32 s45, 0
                                        ; implicit-def: $sgpr42
                                        ; implicit-def: $sgpr43
                                        ; implicit-def: $sgpr44
	s_delay_alu instid0(VALU_DEP_1)
	v_cmp_eq_u32_e32 vcc_lo, 0, v3
	s_branch .LBB16_263
.LBB16_260:                             ;   in Loop: Header=BB16_263 Depth=3
	s_wait_loadcnt_dscnt 0x0
	v_add_nc_u64_e32 v[22:23], 8, v[36:37]
	s_or_b32 s56, s56, exec_lo
	s_delay_alu instid0(VALU_DEP_1)
	v_cmp_ge_u64_e64 s13, v[22:23], v[102:103]
	s_or_not1_b32 s47, s13, exec_lo
.LBB16_261:                             ;   in Loop: Header=BB16_263 Depth=3
	s_or_b32 exec_lo, exec_lo, s58
	s_delay_alu instid0(SALU_CYCLE_1)
	s_and_not1_b32 s13, s44, exec_lo
	s_and_b32 s44, s56, exec_lo
	s_and_not1_b32 s43, s43, exec_lo
	s_and_b32 s47, s47, exec_lo
	s_or_b32 s44, s13, s44
	s_or_b32 s43, s43, s47
.LBB16_262:                             ;   in Loop: Header=BB16_263 Depth=3
	s_or_b32 exec_lo, exec_lo, s46
	s_delay_alu instid0(SALU_CYCLE_1) | instskip(NEXT) | instid1(SALU_CYCLE_1)
	s_and_b32 s13, exec_lo, s43
	s_or_b32 s41, s13, s41
	s_and_not1_b32 s13, s42, exec_lo
	s_and_b32 s42, s44, exec_lo
	s_delay_alu instid0(SALU_CYCLE_1)
	s_or_b32 s42, s13, s42
	s_and_not1_b32 exec_lo, exec_lo, s41
	s_cbranch_execz .LBB16_267
.LBB16_263:                             ;   Parent Loop BB16_73 Depth=1
                                        ;     Parent Loop BB16_255 Depth=2
                                        ; =>    This Inner Loop Header: Depth=3
	s_sleep 1
	s_wait_loadcnt_dscnt 0x0
	flat_load_b64 v[36:37], v[26:27] scope:SCOPE_SYS
	s_or_b32 s44, s44, exec_lo
	s_or_b32 s43, s43, exec_lo
                                        ; implicit-def: $vgpr3
	s_wait_xcnt 0x0
	s_and_saveexec_b32 s46, vcc_lo
	s_cbranch_execz .LBB16_262
; %bb.264:                              ;   in Loop: Header=BB16_263 Depth=3
	s_cmp_lt_i32 s45, 0x270f
	s_mov_b32 s47, -1
	s_cselect_b32 s57, -1, 0
	s_cmp_gt_i32 s45, 0x270e
	s_cbranch_scc0 .LBB16_266
; %bb.265:                              ;   in Loop: Header=BB16_263 Depth=3
	s_trap 2
	ds_load_b64 v[22:23], v0
	s_and_not1_b32 s45, s57, exec_lo
	s_mov_b32 s56, 0
	s_wait_storecnt 0x0
	s_wait_loadcnt_dscnt 0x0
	flat_load_b32 v3, v[22:23] scope:SCOPE_SYS
	s_wait_loadcnt_dscnt 0x0
	global_inv scope:SCOPE_SYS
	v_cmp_eq_u32_e64 s13, 0, v3
	s_and_b32 s13, s13, exec_lo
	s_delay_alu instid0(SALU_CYCLE_1)
	s_or_b32 s57, s45, s13
	s_mov_b32 s45, 0
	s_and_saveexec_b32 s58, s57
	s_cbranch_execz .LBB16_261
	s_branch .LBB16_260
.LBB16_266:                             ;   in Loop: Header=BB16_263 Depth=3
	s_add_co_i32 s45, s45, 1
	s_mov_b32 s56, -1
                                        ; implicit-def: $vgpr3
	s_and_saveexec_b32 s58, s57
	s_cbranch_execz .LBB16_261
	s_branch .LBB16_260
.LBB16_267:                             ;   in Loop: Header=BB16_255 Depth=2
	s_or_b32 exec_lo, exec_lo, s41
	s_xor_b32 s13, s42, -1
	s_delay_alu instid0(SALU_CYCLE_1) | instskip(NEXT) | instid1(SALU_CYCLE_1)
	s_and_saveexec_b32 s41, s13
	s_xor_b32 s13, exec_lo, s41
	s_cbranch_execz .LBB16_269
; %bb.268:                              ;   in Loop: Header=BB16_255 Depth=2
	v_or_b32_e32 v30, 64, v30
	s_wait_storecnt 0x0
	s_wait_loadcnt_dscnt 0x0
	ds_store_b32 v0, v3
	s_trap 2
.LBB16_269:                             ;   in Loop: Header=BB16_255 Depth=2
	s_or_b32 exec_lo, exec_lo, s13
.LBB16_270:                             ;   in Loop: Header=BB16_255 Depth=2
	s_delay_alu instid0(SALU_CYCLE_1)
	s_or_b32 exec_lo, exec_lo, s40
	v_and_b32_e32 v3, 0x100, v30
	v_and_b32_e32 v48, 7, v98
	s_mov_b32 s13, -1
	s_mov_b32 s40, exec_lo
	;;#ASMSTART
	s_wakeup
	;;#ASMEND
                                        ; implicit-def: $vgpr98_vgpr99
	v_cmpx_ne_u32_e32 0, v3
	s_cbranch_execz .LBB16_274
; %bb.271:                              ;   in Loop: Header=BB16_255 Depth=2
	v_mad_nc_u64_u32 v[112:113], v48, 24, v[12:13]
	v_ashrrev_i32_e32 v5, 31, v4
	s_mov_b32 s41, exec_lo
                                        ; implicit-def: $vgpr98_vgpr99
	s_clause 0x1
	flat_load_b32 v3, v[112:113]
	flat_store_b64 v[112:113], v[4:5] offset:8
	s_wait_loadcnt_dscnt 0x1
	v_cmp_ne_u32_e32 vcc_lo, 1, v3
	s_wait_xcnt 0x0
	v_cmpx_eq_u32_e32 1, v3
	s_cbranch_execz .LBB16_273
; %bb.272:                              ;   in Loop: Header=BB16_255 Depth=2
	flat_load_b32 v98, v[112:113] offset:4 scope:SCOPE_SYS
	s_wait_loadcnt_dscnt 0x0
	v_ashrrev_i32_e32 v99, 31, v98
.LBB16_273:                             ;   in Loop: Header=BB16_255 Depth=2
	s_wait_xcnt 0x0
	s_or_b32 exec_lo, exec_lo, s41
	s_delay_alu instid0(SALU_CYCLE_1)
	s_or_not1_b32 s13, vcc_lo, exec_lo
.LBB16_274:                             ;   in Loop: Header=BB16_255 Depth=2
	s_or_b32 exec_lo, exec_lo, s40
	s_and_saveexec_b32 s40, s13
; %bb.275:                              ;   in Loop: Header=BB16_255 Depth=2
	v_mul_u64_e32 v[98:99], v[48:49], v[28:29]
; %bb.276:                              ;   in Loop: Header=BB16_255 Depth=2
	s_or_b32 exec_lo, exec_lo, s40
	s_delay_alu instid0(VALU_DEP_1)
	v_add_nc_u64_e32 v[22:23], v[32:33], v[98:99]
	v_and_b32_e32 v3, 0x2000, v30
	s_mov_b32 s13, exec_lo
	ds_store_b64 v0, v[22:23] offset:784
	v_cmpx_ne_u32_e32 0, v3
	s_cbranch_execz .LBB16_278
; %bb.277:                              ;   in Loop: Header=BB16_255 Depth=2
	ds_load_b64 v[22:23], v0 offset:872
	s_wait_dscnt 0x0
	v_add_nc_u64_e32 v[22:23], 1, v[22:23]
	ds_store_b64 v0, v[22:23] offset:872
.LBB16_278:                             ;   in Loop: Header=BB16_255 Depth=2
	s_or_b32 exec_lo, exec_lo, s13
	v_mov_b64_e32 v[98:99], v[102:103]
.LBB16_279:                             ;   in Loop: Header=BB16_255 Depth=2
	s_or_b32 exec_lo, exec_lo, s29
	s_and_saveexec_b32 s13, s1
	s_cbranch_execz .LBB16_298
; %bb.280:                              ;   in Loop: Header=BB16_255 Depth=2
	s_and_saveexec_b32 s29, s2
	s_delay_alu instid0(SALU_CYCLE_1)
	s_xor_b32 s29, exec_lo, s29
	s_cbranch_execz .LBB16_295
; %bb.281:                              ;   in Loop: Header=BB16_255 Depth=2
	s_and_saveexec_b32 s40, s5
	s_cbranch_execz .LBB16_294
; %bb.282:                              ;   in Loop: Header=BB16_255 Depth=2
	s_mov_b32 s42, exec_lo
	s_mov_b32 s41, exec_lo
	v_mbcnt_lo_u32_b32 v3, s42, 0
	global_wb scope:SCOPE_DEV
	s_wait_storecnt 0x0
	s_wait_loadcnt_dscnt 0x0
	global_inv scope:SCOPE_DEV
	v_cmpx_eq_u32_e32 0, v3
	s_cbranch_execz .LBB16_284
; %bb.283:                              ;   in Loop: Header=BB16_255 Depth=2
	s_bcnt1_i32_b32 s42, s42
	s_delay_alu instid0(SALU_CYCLE_1)
	v_mov_b32_e32 v48, s42
	s_wait_loadcnt 0x0
	ds_add_u64 v0, v[48:49]
	s_trap 2
.LBB16_284:                             ;   in Loop: Header=BB16_255 Depth=2
	s_or_b32 exec_lo, exec_lo, s41
	s_trap 2
	ds_load_b64 v[22:23], v0
	s_wait_dscnt 0x0
	v_add_nc_u64_e32 v[14:15], v[14:15], v[50:51]
	s_mov_b32 s41, exec_lo
	s_delay_alu instid0(VALU_DEP_1)
	v_cmpx_lt_u64_e64 v[22:23], v[14:15]
	s_cbranch_execz .LBB16_293
; %bb.285:                              ;   in Loop: Header=BB16_255 Depth=2
	s_mov_b32 s42, 0
	s_mov_b32 s45, 0
                                        ; implicit-def: $sgpr43
                                        ; implicit-def: $sgpr44
	s_branch .LBB16_287
.LBB16_286:                             ;   in Loop: Header=BB16_287 Depth=3
	s_or_b32 exec_lo, exec_lo, s47
	s_delay_alu instid0(SALU_CYCLE_1) | instskip(NEXT) | instid1(SALU_CYCLE_1)
	s_and_b32 s46, exec_lo, s56
	s_or_b32 s42, s46, s42
	s_and_not1_b32 s43, s43, exec_lo
	s_and_b32 s46, s44, exec_lo
	s_delay_alu instid0(SALU_CYCLE_1)
	s_or_b32 s43, s43, s46
	s_and_not1_b32 exec_lo, exec_lo, s42
	s_cbranch_execz .LBB16_291
.LBB16_287:                             ;   Parent Loop BB16_73 Depth=1
                                        ;     Parent Loop BB16_255 Depth=2
                                        ; =>    This Inner Loop Header: Depth=3
	s_add_co_i32 s45, s45, 1
	s_delay_alu instid0(SALU_CYCLE_1) | instskip(SKIP_1) | instid1(SALU_CYCLE_1)
	s_cmp_lg_u32 s45, 0x2710
	s_cselect_b32 s46, -1, 0
	s_and_b32 vcc_lo, exec_lo, s46
	s_cbranch_vccz .LBB16_289
; %bb.288:                              ;   in Loop: Header=BB16_287 Depth=3
	s_mov_b32 s56, -1
	s_or_b32 s44, s44, exec_lo
	s_and_saveexec_b32 s47, s46
	s_cbranch_execz .LBB16_286
	s_branch .LBB16_290
.LBB16_289:                             ;   in Loop: Header=BB16_287 Depth=3
	s_trap 2
	ds_load_b64 v[22:23], v0
	s_and_not1_b32 s46, s46, exec_lo
	s_mov_b32 s45, 0
	s_wait_loadcnt_dscnt 0x0
	flat_load_b32 v3, v[22:23] scope:SCOPE_SYS
	s_wait_loadcnt_dscnt 0x0
	global_inv scope:SCOPE_SYS
	v_cmp_eq_u32_e32 vcc_lo, 0, v3
	s_and_b32 s47, vcc_lo, exec_lo
	s_delay_alu instid0(SALU_CYCLE_1)
	s_or_b32 s46, s46, s47
	s_mov_b32 s56, -1
	s_or_b32 s44, s44, exec_lo
	s_and_saveexec_b32 s47, s46
	s_cbranch_execz .LBB16_286
.LBB16_290:                             ;   in Loop: Header=BB16_287 Depth=3
	s_sleep 1
	s_trap 2
	ds_load_b64 v[22:23], v0
	s_wait_dscnt 0x0
	s_and_not1_b32 s44, s44, exec_lo
	v_cmp_ge_u64_e32 vcc_lo, v[22:23], v[14:15]
	s_or_not1_b32 s56, vcc_lo, exec_lo
	s_branch .LBB16_286
.LBB16_291:                             ;   in Loop: Header=BB16_255 Depth=2
	s_or_b32 exec_lo, exec_lo, s42
	s_and_saveexec_b32 s42, s43
	s_delay_alu instid0(SALU_CYCLE_1)
	s_xor_b32 s42, exec_lo, s42
	s_cbranch_execz .LBB16_293
; %bb.292:                              ;   in Loop: Header=BB16_255 Depth=2
	ds_store_b32 v0, v58
	s_trap 2
.LBB16_293:                             ;   in Loop: Header=BB16_255 Depth=2
	s_or_b32 exec_lo, exec_lo, s41
	;;#ASMSTART
	s_wakeup
	;;#ASMEND
.LBB16_294:                             ;   in Loop: Header=BB16_255 Depth=2
	s_or_b32 exec_lo, exec_lo, s40
.LBB16_295:                             ;   in Loop: Header=BB16_255 Depth=2
	s_and_not1_saveexec_b32 s29, s29
	s_cbranch_execz .LBB16_297
; %bb.296:                              ;   in Loop: Header=BB16_255 Depth=2
	global_wb scope:SCOPE_DEV
	s_wait_storecnt 0x0
	s_wait_loadcnt_dscnt 0x0
	global_inv scope:SCOPE_DEV
	s_barrier_signal -1
	s_barrier_wait -1
.LBB16_297:                             ;   in Loop: Header=BB16_255 Depth=2
	s_or_b32 exec_lo, exec_lo, s29
.LBB16_298:                             ;   in Loop: Header=BB16_255 Depth=2
	s_delay_alu instid0(SALU_CYCLE_1) | instskip(SKIP_3) | instid1(VALU_DEP_1)
	s_or_b32 exec_lo, exec_lo, s13
	s_trap 2
	ds_load_b32 v3, v0
	v_and_b32_e32 v5, 0x4000, v30
	v_cmp_ne_u32_e32 vcc_lo, 0, v5
	s_and_b32 s29, s27, vcc_lo
	s_delay_alu instid0(SALU_CYCLE_1)
	s_and_saveexec_b32 s13, s29
	s_cbranch_execz .LBB16_317
; %bb.299:                              ;   in Loop: Header=BB16_255 Depth=2
	s_and_saveexec_b32 s29, s2
	s_delay_alu instid0(SALU_CYCLE_1)
	s_xor_b32 s29, exec_lo, s29
	s_cbranch_execz .LBB16_314
; %bb.300:                              ;   in Loop: Header=BB16_255 Depth=2
	s_and_saveexec_b32 s40, s5
	s_cbranch_execz .LBB16_313
; %bb.301:                              ;   in Loop: Header=BB16_255 Depth=2
	s_mov_b32 s42, exec_lo
	s_mov_b32 s41, exec_lo
	v_mbcnt_lo_u32_b32 v5, s42, 0
	global_wb scope:SCOPE_DEV
	s_wait_storecnt 0x0
	s_wait_loadcnt_dscnt 0x0
	global_inv scope:SCOPE_DEV
	v_cmpx_eq_u32_e32 0, v5
	s_cbranch_execz .LBB16_303
; %bb.302:                              ;   in Loop: Header=BB16_255 Depth=2
	s_bcnt1_i32_b32 s42, s42
	s_delay_alu instid0(SALU_CYCLE_1)
	v_mov_b32_e32 v48, s42
	s_wait_loadcnt 0x0
	ds_add_u64 v0, v[48:49]
	s_trap 2
.LBB16_303:                             ;   in Loop: Header=BB16_255 Depth=2
	s_or_b32 exec_lo, exec_lo, s41
	s_trap 2
	ds_load_b64 v[22:23], v0
	s_wait_dscnt 0x0
	v_add_nc_u64_e32 v[14:15], v[14:15], v[50:51]
	s_mov_b32 s41, exec_lo
	s_delay_alu instid0(VALU_DEP_1)
	v_cmpx_lt_u64_e64 v[22:23], v[14:15]
	s_cbranch_execz .LBB16_312
; %bb.304:                              ;   in Loop: Header=BB16_255 Depth=2
	s_mov_b32 s42, 0
	s_mov_b32 s45, 0
                                        ; implicit-def: $sgpr43
                                        ; implicit-def: $sgpr44
	s_branch .LBB16_306
.LBB16_305:                             ;   in Loop: Header=BB16_306 Depth=3
	s_or_b32 exec_lo, exec_lo, s47
	s_delay_alu instid0(SALU_CYCLE_1) | instskip(NEXT) | instid1(SALU_CYCLE_1)
	s_and_b32 s46, exec_lo, s56
	s_or_b32 s42, s46, s42
	s_and_not1_b32 s43, s43, exec_lo
	s_and_b32 s46, s44, exec_lo
	s_delay_alu instid0(SALU_CYCLE_1)
	s_or_b32 s43, s43, s46
	s_and_not1_b32 exec_lo, exec_lo, s42
	s_cbranch_execz .LBB16_310
.LBB16_306:                             ;   Parent Loop BB16_73 Depth=1
                                        ;     Parent Loop BB16_255 Depth=2
                                        ; =>    This Inner Loop Header: Depth=3
	s_add_co_i32 s45, s45, 1
	s_delay_alu instid0(SALU_CYCLE_1) | instskip(SKIP_1) | instid1(SALU_CYCLE_1)
	s_cmp_lg_u32 s45, 0x2710
	s_cselect_b32 s46, -1, 0
	s_and_b32 vcc_lo, exec_lo, s46
	s_cbranch_vccz .LBB16_308
; %bb.307:                              ;   in Loop: Header=BB16_306 Depth=3
	s_mov_b32 s56, -1
	s_or_b32 s44, s44, exec_lo
	s_and_saveexec_b32 s47, s46
	s_cbranch_execz .LBB16_305
	s_branch .LBB16_309
.LBB16_308:                             ;   in Loop: Header=BB16_306 Depth=3
	s_trap 2
	ds_load_b64 v[22:23], v0
	s_and_not1_b32 s46, s46, exec_lo
	s_mov_b32 s45, 0
	s_wait_loadcnt_dscnt 0x0
	flat_load_b32 v5, v[22:23] scope:SCOPE_SYS
	s_wait_loadcnt_dscnt 0x0
	global_inv scope:SCOPE_SYS
	v_cmp_eq_u32_e32 vcc_lo, 0, v5
	s_and_b32 s47, vcc_lo, exec_lo
	s_delay_alu instid0(SALU_CYCLE_1)
	s_or_b32 s46, s46, s47
	s_mov_b32 s56, -1
	s_or_b32 s44, s44, exec_lo
	s_and_saveexec_b32 s47, s46
	s_cbranch_execz .LBB16_305
.LBB16_309:                             ;   in Loop: Header=BB16_306 Depth=3
	s_sleep 1
	s_trap 2
	ds_load_b64 v[22:23], v0
	s_wait_dscnt 0x0
	s_and_not1_b32 s44, s44, exec_lo
	v_cmp_ge_u64_e32 vcc_lo, v[22:23], v[14:15]
	s_or_not1_b32 s56, vcc_lo, exec_lo
	s_branch .LBB16_305
.LBB16_310:                             ;   in Loop: Header=BB16_255 Depth=2
	s_or_b32 exec_lo, exec_lo, s42
	s_and_saveexec_b32 s42, s43
	s_delay_alu instid0(SALU_CYCLE_1)
	s_xor_b32 s42, exec_lo, s42
	s_cbranch_execz .LBB16_312
; %bb.311:                              ;   in Loop: Header=BB16_255 Depth=2
	ds_store_b32 v0, v58
	s_trap 2
.LBB16_312:                             ;   in Loop: Header=BB16_255 Depth=2
	s_or_b32 exec_lo, exec_lo, s41
	;;#ASMSTART
	s_wakeup
	;;#ASMEND
.LBB16_313:                             ;   in Loop: Header=BB16_255 Depth=2
	s_or_b32 exec_lo, exec_lo, s40
.LBB16_314:                             ;   in Loop: Header=BB16_255 Depth=2
	s_and_not1_saveexec_b32 s29, s29
	s_cbranch_execz .LBB16_316
; %bb.315:                              ;   in Loop: Header=BB16_255 Depth=2
	global_wb scope:SCOPE_DEV
	s_wait_storecnt 0x0
	s_wait_loadcnt_dscnt 0x0
	global_inv scope:SCOPE_DEV
	s_barrier_signal -1
	s_barrier_wait -1
.LBB16_316:                             ;   in Loop: Header=BB16_255 Depth=2
	s_or_b32 exec_lo, exec_lo, s29
.LBB16_317:                             ;   in Loop: Header=BB16_255 Depth=2
	s_delay_alu instid0(SALU_CYCLE_1)
	s_or_b32 exec_lo, exec_lo, s13
	s_trap 2
	ds_load_b64 v[102:103], v0
	s_wait_dscnt 0x0
	v_cmp_eq_u64_e32 vcc_lo, 0, v[102:103]
	s_cbranch_vccnz .LBB16_325
; %bb.318:                              ;   in Loop: Header=BB16_255 Depth=2
	s_trap 2
	ds_load_b64 v[112:113], v0
	s_wait_dscnt 0x0
	v_cmp_eq_u64_e32 vcc_lo, 0, v[112:113]
	s_cbranch_vccnz .LBB16_325
; %bb.319:                              ;   in Loop: Header=BB16_255 Depth=2
	s_mov_b32 s13, -1
	s_and_saveexec_b32 s29, s6
	s_cbranch_execz .LBB16_321
; %bb.320:                              ;   in Loop: Header=BB16_255 Depth=2
	ds_load_b32 v5, v0 offset:720
	s_wait_dscnt 0x0
	v_and_b32_e32 v5, 15, v5
	s_delay_alu instid0(VALU_DEP_1)
	v_cmp_eq_u32_e32 vcc_lo, 0, v5
	s_or_not1_b32 s13, vcc_lo, exec_lo
.LBB16_321:                             ;   in Loop: Header=BB16_255 Depth=2
	s_or_b32 exec_lo, exec_lo, s29
	s_and_saveexec_b32 s29, s11
	s_cbranch_execz .LBB16_323
; %bb.322:                              ;   in Loop: Header=BB16_255 Depth=2
	ds_load_b32 v5, v0 offset:784
	s_wait_dscnt 0x0
	v_and_b32_e32 v5, 15, v5
	s_delay_alu instid0(VALU_DEP_1) | instskip(SKIP_3) | instid1(SALU_CYCLE_1)
	v_cmp_eq_u32_e32 vcc_lo, 0, v5
	s_and_b32 s40, s13, vcc_lo
	s_and_not1_b32 s13, s13, exec_lo
	s_and_b32 s40, s40, exec_lo
	s_or_b32 s13, s13, s40
.LBB16_323:                             ;   in Loop: Header=BB16_255 Depth=2
	s_or_b32 exec_lo, exec_lo, s29
	v_cmp_eq_u32_e32 vcc_lo, 0, v3
	s_xor_b32 s13, s13, -1
	v_mov_b32_e32 v114, v61
	v_cndmask_b32_e64 v5, 0, 1, s13
	s_mov_b32 s40, -1
	v_dual_cndmask_b32 v3, 0, v4 :: v_dual_mov_b32 v116, v0
	s_delay_alu instid0(VALU_DEP_2) | instskip(NEXT) | instid1(VALU_DEP_2)
	v_cmp_ne_u32_e32 vcc_lo, 0, v5
	v_dual_mov_b32 v5, 0 :: v_dual_mov_b32 v48, v3
	s_cbranch_vccz .LBB16_330
; %bb.324:                              ;   in Loop: Header=BB16_255 Depth=2
	s_and_saveexec_b32 s13, s40
	s_cbranch_execnz .LBB16_343
	s_branch .LBB16_351
.LBB16_325:                             ;   in Loop: Header=BB16_255 Depth=2
	s_mov_b32 s13, 0
	s_and_saveexec_b32 s29, s1
	s_cbranch_execnz .LBB16_352
.LBB16_326:                             ;   in Loop: Header=BB16_255 Depth=2
	s_or_b32 exec_lo, exec_lo, s29
                                        ; implicit-def: $vgpr3
	s_and_saveexec_b32 s29, s10
	s_delay_alu instid0(SALU_CYCLE_1)
	s_xor_b32 s29, exec_lo, s29
	s_cbranch_execz .LBB16_370
.LBB16_327:                             ;   in Loop: Header=BB16_255 Depth=2
	v_and_b32_e32 v3, 16, v30
	s_delay_alu instid0(VALU_DEP_1) | instskip(SKIP_2) | instid1(SALU_CYCLE_1)
	v_cmp_ne_u32_e32 vcc_lo, 0, v3
	v_and_b32_e32 v3, 16, v30
	s_and_b32 s40, vcc_lo, s13
	s_and_saveexec_b32 s13, s40
	s_cbranch_execz .LBB16_329
; %bb.328:                              ;   in Loop: Header=BB16_255 Depth=2
	v_mov_b32_e32 v3, 1
	global_wb scope:SCOPE_SYS
	s_wait_storecnt 0x0
	s_wait_loadcnt_dscnt 0x0
	global_inv scope:SCOPE_SYS
.LBB16_329:                             ;   in Loop: Header=BB16_255 Depth=2
	s_or_b32 exec_lo, exec_lo, s13
	s_and_not1_saveexec_b32 s13, s29
	s_cbranch_execz .LBB16_389
	s_branch .LBB16_371
.LBB16_330:                             ;   in Loop: Header=BB16_255 Depth=2
	v_ashrrev_i32_e32 v5, 31, v3
	s_mov_b32 s13, exec_lo
	s_delay_alu instid0(VALU_DEP_1) | instskip(NEXT) | instid1(VALU_DEP_1)
	v_lshrrev_b32_e32 v5, 20, v5
	v_add_nc_u32_e32 v5, v3, v5
	s_delay_alu instid0(VALU_DEP_1) | instskip(NEXT) | instid1(VALU_DEP_1)
	v_ashrrev_i32_e32 v5, 12, v5
	v_sub_nc_u32_e32 v118, v5, v61
	s_delay_alu instid0(VALU_DEP_1)
	v_cmpx_lt_i32_e32 0, v118
	s_cbranch_execz .LBB16_334
; %bb.331:                              ;   in Loop: Header=BB16_255 Depth=2
	v_mov_b64_e32 v[114:115], v[112:113]
	v_mov_b64_e32 v[116:117], v[102:103]
	s_mov_b32 s29, 0
.LBB16_332:                             ;   Parent Loop BB16_73 Depth=1
                                        ;     Parent Loop BB16_255 Depth=2
                                        ; =>    This Inner Loop Header: Depth=3
	s_delay_alu instid0(VALU_DEP_1)
	v_add_nc_u64_e32 v[22:23], v[96:97], v[116:117]
	v_sub_nc_u32_e32 v118, v118, v50
	v_add_nc_u64_e32 v[116:117], v[116:117], v[70:71]
	s_clause 0x7
	global_load_b128 v[40:43], v[22:23], off th:TH_LOAD_NT
	global_load_b128 v[44:47], v[22:23], off offset:512 th:TH_LOAD_NT
	global_load_b128 v[74:77], v[22:23], off offset:1024 th:TH_LOAD_NT
	;; [unrolled: 1-line block ×7, first 2 shown]
	s_wait_xcnt 0x0
	v_add_nc_u64_e32 v[22:23], v[96:97], v[114:115]
	v_add_nc_u64_e32 v[114:115], v[114:115], v[70:71]
	v_cmp_gt_i32_e32 vcc_lo, 1, v118
	s_wait_loadcnt 0x7
	global_store_b128 v[22:23], v[40:43], off th:TH_STORE_NT
	s_wait_loadcnt 0x6
	global_store_b128 v[22:23], v[44:47], off offset:512 th:TH_STORE_NT
	s_wait_loadcnt 0x5
	global_store_b128 v[22:23], v[74:77], off offset:1024 th:TH_STORE_NT
	;; [unrolled: 2-line block ×7, first 2 shown]
	s_or_b32 s29, vcc_lo, s29
	s_wait_xcnt 0x0
	s_and_not1_b32 exec_lo, exec_lo, s29
	s_cbranch_execnz .LBB16_332
; %bb.333:                              ;   in Loop: Header=BB16_255 Depth=2
	s_or_b32 exec_lo, exec_lo, s29
.LBB16_334:                             ;   in Loop: Header=BB16_255 Depth=2
	s_delay_alu instid0(SALU_CYCLE_1) | instskip(SKIP_3) | instid1(VALU_DEP_1)
	s_or_b32 exec_lo, exec_lo, s13
	v_dual_lshlrev_b32 v117, 12, v5 :: v_dual_mov_b32 v5, 0
	s_mov_b32 s40, 0
	s_mov_b32 s29, exec_lo
                                        ; implicit-def: $vgpr48
                                        ; implicit-def: $vgpr116
                                        ; implicit-def: $vgpr114
	v_cmpx_ne_u32_e64 v3, v117
	s_cbranch_execz .LBB16_342
; %bb.335:                              ;   in Loop: Header=BB16_255 Depth=2
	v_dual_lshlrev_b32 v5, 5, v118 :: v_dual_sub_nc_u32 v23, v3, v117
	s_mov_b32 s40, exec_lo
	s_delay_alu instid0(VALU_DEP_1) | instskip(NEXT) | instid1(VALU_DEP_1)
	v_dual_sub_nc_u32 v5, v62, v5 :: v_dual_ashrrev_i32 v24, 31, v23
	v_dual_ashrrev_i32 v22, 31, v5 :: v_dual_lshrrev_b32 v24, 23, v24
	s_delay_alu instid0(VALU_DEP_1) | instskip(NEXT) | instid1(VALU_DEP_1)
	v_lshrrev_b32_e32 v22, 27, v22
	v_add_nc_u32_e32 v22, v5, v22
	s_delay_alu instid0(VALU_DEP_1) | instskip(NEXT) | instid1(VALU_DEP_1)
	v_and_b32_e32 v25, 0xffffffe0, v22
	v_dual_add_nc_u32 v24, v23, v24 :: v_dual_sub_nc_u32 v119, v5, v25
	s_delay_alu instid0(VALU_DEP_1) | instskip(SKIP_1) | instid1(VALU_DEP_2)
	v_and_b32_e32 v118, 0xfffffe00, v24
	v_dual_ashrrev_i32 v22, 5, v22 :: v_dual_ashrrev_i32 v24, 9, v24
	v_dual_lshlrev_b32 v5, 4, v119 :: v_dual_sub_nc_u32 v40, v23, v118
	s_delay_alu instid0(VALU_DEP_1) | instskip(NEXT) | instid1(VALU_DEP_2)
	v_lshl_add_u32 v48, v22, 9, v5
	v_cmp_lt_i32_e32 vcc_lo, 15, v40
	s_delay_alu instid0(VALU_DEP_4) | instskip(NEXT) | instid1(VALU_DEP_1)
	v_add_co_ci_u32_e64 v24, null, 0, v24, vcc_lo
	v_dual_sub_nc_u32 v5, v23, v48 :: v_dual_sub_nc_u32 v41, v24, v22
	s_delay_alu instid0(VALU_DEP_1)
	v_cmpx_lt_i32_e32 15, v5
	s_cbranch_execz .LBB16_339
; %bb.336:                              ;   in Loop: Header=BB16_255 Depth=2
	v_add_nc_u32_e32 v114, v48, v117
	s_mov_b32 s41, 0
	s_delay_alu instid0(VALU_DEP_1)
	v_ashrrev_i32_e32 v115, 31, v114
.LBB16_337:                             ;   Parent Loop BB16_73 Depth=1
                                        ;     Parent Loop BB16_255 Depth=2
                                        ; =>    This Inner Loop Header: Depth=3
	s_delay_alu instid0(VALU_DEP_1) | instskip(SKIP_2) | instid1(VALU_DEP_2)
	v_add_nc_u64_e32 v[22:23], v[102:103], v[114:115]
	v_sub_nc_u32_e32 v5, v5, v60
	v_sub_nc_u32_e32 v41, v41, v50
	v_cmp_gt_i32_e64 s13, 16, v5
	global_load_b128 v[42:45], v[22:23], off th:TH_LOAD_NT
	s_wait_xcnt 0x0
	v_add_nc_u64_e32 v[22:23], v[112:113], v[114:115]
	v_add_nc_u64_e32 v[114:115], v[114:115], v[86:87]
	s_or_b32 s41, s13, s41
	s_wait_loadcnt 0x0
	global_store_b128 v[22:23], v[42:45], off th:TH_STORE_NT
	s_wait_xcnt 0x0
	s_and_not1_b32 exec_lo, exec_lo, s41
	s_cbranch_execnz .LBB16_337
; %bb.338:                              ;   in Loop: Header=BB16_255 Depth=2
	s_or_b32 exec_lo, exec_lo, s41
.LBB16_339:                             ;   in Loop: Header=BB16_255 Depth=2
	s_delay_alu instid0(SALU_CYCLE_1) | instskip(SKIP_3) | instid1(VALU_DEP_1)
	s_or_b32 exec_lo, exec_lo, s40
	v_dual_mov_b32 v5, 0 :: v_dual_bitop2_b32 v115, 15, v3 bitop3:0x40
	s_mov_b32 s40, 0
	s_mov_b32 s41, exec_lo
                                        ; implicit-def: $vgpr116
                                        ; implicit-def: $vgpr114
	v_cndmask_b32_e32 v48, v40, v115, vcc_lo
	s_delay_alu instid0(VALU_DEP_1)
	v_cmpx_ne_u32_e32 0, v48
	s_cbranch_execz .LBB16_341
; %bb.340:                              ;   in Loop: Header=BB16_255 Depth=2
	v_cmp_lt_i32_e64 s13, 0, v41
	s_mov_b32 s40, exec_lo
	v_dual_sub_nc_u32 v22, v40, v115 :: v_dual_cndmask_b32 v5, 0, v50, s13
	s_delay_alu instid0(VALU_DEP_1) | instskip(NEXT) | instid1(VALU_DEP_1)
	v_dual_cndmask_b32 v22, 0, v22 :: v_dual_sub_nc_u32 v5, v5, v41
	v_lshl_add_u32 v116, v5, 5, v119
	s_delay_alu instid0(VALU_DEP_1) | instskip(NEXT) | instid1(VALU_DEP_1)
	v_ashrrev_i32_e32 v5, 31, v116
	v_lshrrev_b32_e32 v5, 27, v5
	s_delay_alu instid0(VALU_DEP_1) | instskip(SKIP_1) | instid1(VALU_DEP_2)
	v_add_nc_u32_e32 v23, v116, v5
	v_add3_u32 v5, v118, v117, v22
	v_ashrrev_i32_e32 v114, 5, v23
.LBB16_341:                             ;   in Loop: Header=BB16_255 Depth=2
	s_or_b32 exec_lo, exec_lo, s41
	s_delay_alu instid0(SALU_CYCLE_1)
	s_and_b32 s40, s40, exec_lo
.LBB16_342:                             ;   in Loop: Header=BB16_255 Depth=2
	s_or_b32 exec_lo, exec_lo, s29
	s_and_saveexec_b32 s13, s40
	s_cbranch_execz .LBB16_351
.LBB16_343:                             ;   in Loop: Header=BB16_255 Depth=2
	v_ashrrev_i32_e32 v22, 31, v48
	s_mov_b32 s29, exec_lo
	s_delay_alu instid0(VALU_DEP_1) | instskip(NEXT) | instid1(VALU_DEP_1)
	v_lshrrev_b32_e32 v22, 22, v22
	v_add_nc_u32_e32 v22, v48, v22
	s_delay_alu instid0(VALU_DEP_1) | instskip(NEXT) | instid1(VALU_DEP_1)
	v_ashrrev_i32_e32 v118, 10, v22
	v_sub_nc_u32_e32 v117, v118, v114
	s_delay_alu instid0(VALU_DEP_1)
	v_cmpx_lt_i32_e32 0, v117
	s_cbranch_execz .LBB16_347
; %bb.344:                              ;   in Loop: Header=BB16_255 Depth=2
	v_dual_ashrrev_i32 v22, 31, v116 :: v_dual_lshlrev_b32 v23, 10, v114
	s_mov_b32 s40, 0
	s_delay_alu instid0(VALU_DEP_1) | instskip(NEXT) | instid1(VALU_DEP_1)
	v_lshrrev_b32_e32 v22, 27, v22
	v_add_nc_u32_e32 v22, v116, v22
	s_delay_alu instid0(VALU_DEP_1) | instskip(NEXT) | instid1(VALU_DEP_1)
	v_and_b32_e32 v22, 0xffffffe0, v22
	v_sub_nc_u32_e32 v22, v116, v22
	s_delay_alu instid0(VALU_DEP_1) | instskip(NEXT) | instid1(VALU_DEP_1)
	v_add3_u32 v114, v5, v22, v23
	v_ashrrev_i32_e32 v115, 31, v114
.LBB16_345:                             ;   Parent Loop BB16_73 Depth=1
                                        ;     Parent Loop BB16_255 Depth=2
                                        ; =>    This Inner Loop Header: Depth=3
	s_delay_alu instid0(VALU_DEP_1)
	v_add_nc_u64_e32 v[22:23], v[114:115], v[102:103]
	v_sub_nc_u32_e32 v117, v117, v50
	v_add_nc_u64_e32 v[102:103], v[102:103], v[66:67]
	s_clause 0x1f
	flat_load_u8 v24, v[22:23] th:TH_LOAD_NT
	flat_load_u8 v25, v[22:23] offset:32 th:TH_LOAD_NT
	flat_load_u8 v119, v[22:23] offset:64 th:TH_LOAD_NT
	;; [unrolled: 1-line block ×31, first 2 shown]
	s_wait_xcnt 0x0
	v_add_nc_u64_e32 v[22:23], v[114:115], v[112:113]
	v_add_nc_u64_e32 v[112:113], v[112:113], v[66:67]
	v_cmp_gt_i32_e32 vcc_lo, 1, v117
	s_wait_loadcnt_dscnt 0x1f1f
	flat_store_b8 v[22:23], v24 th:TH_STORE_NT
	s_wait_loadcnt_dscnt 0x1e1f
	flat_store_b8 v[22:23], v25 offset:32 th:TH_STORE_NT
	s_wait_loadcnt_dscnt 0x1d1f
	flat_store_b8 v[22:23], v119 offset:64 th:TH_STORE_NT
	;; [unrolled: 2-line block ×31, first 2 shown]
	s_or_b32 s40, vcc_lo, s40
	s_wait_xcnt 0x0
	s_and_not1_b32 exec_lo, exec_lo, s40
	s_cbranch_execnz .LBB16_345
; %bb.346:                              ;   in Loop: Header=BB16_255 Depth=2
	s_or_b32 exec_lo, exec_lo, s40
.LBB16_347:                             ;   in Loop: Header=BB16_255 Depth=2
	s_delay_alu instid0(SALU_CYCLE_1) | instskip(SKIP_1) | instid1(VALU_DEP_1)
	s_or_b32 exec_lo, exec_lo, s29
	v_lshlrev_b32_e32 v102, 10, v118
	v_cmp_ne_u32_e32 vcc_lo, v48, v102
	s_and_b32 exec_lo, exec_lo, vcc_lo
	s_cbranch_execz .LBB16_351
; %bb.348:                              ;   in Loop: Header=BB16_255 Depth=2
	v_dual_ashrrev_i32 v22, 31, v116 :: v_dual_lshlrev_b32 v23, 5, v117
	s_delay_alu instid0(VALU_DEP_1) | instskip(NEXT) | instid1(VALU_DEP_1)
	v_lshrrev_b32_e32 v22, 27, v22
	v_add_nc_u32_e32 v22, v116, v22
	s_delay_alu instid0(VALU_DEP_1) | instskip(NEXT) | instid1(VALU_DEP_1)
	v_and_b32_e32 v22, 0xffffffe0, v22
	v_sub_nc_u32_e32 v22, v116, v22
	s_delay_alu instid0(VALU_DEP_1) | instskip(NEXT) | instid1(VALU_DEP_1)
	v_sub_nc_u32_e32 v22, v22, v23
	v_add_nc_u32_e32 v112, v102, v22
	s_delay_alu instid0(VALU_DEP_1) | instskip(NEXT) | instid1(VALU_DEP_1)
	v_sub_nc_u32_e32 v48, v48, v112
	v_cmp_lt_i32_e32 vcc_lo, 0, v48
	s_and_b32 exec_lo, exec_lo, vcc_lo
	s_cbranch_execz .LBB16_351
; %bb.349:                              ;   in Loop: Header=BB16_255 Depth=2
	s_trap 2
	ds_load_b64 v[102:103], v0
	v_add_nc_u32_e32 v112, v112, v5
	s_mov_b32 s29, 0
	s_delay_alu instid0(VALU_DEP_1)
	v_ashrrev_i32_e32 v113, 31, v112
.LBB16_350:                             ;   Parent Loop BB16_73 Depth=1
                                        ;     Parent Loop BB16_255 Depth=2
                                        ; =>    This Inner Loop Header: Depth=3
	s_wait_dscnt 0x0
	s_delay_alu instid0(VALU_DEP_1) | instskip(SKIP_2) | instid1(VALU_DEP_2)
	v_add_nc_u64_e32 v[22:23], v[102:103], v[112:113]
	v_sub_nc_u32_e32 v48, v48, v57
	v_add_nc_u64_e32 v[112:113], v[112:113], v[84:85]
	v_cmp_gt_i32_e32 vcc_lo, 1, v48
	flat_load_u8 v5, v[22:23] th:TH_LOAD_NT
	s_or_b32 s29, vcc_lo, s29
	s_wait_loadcnt_dscnt 0x0
	flat_store_b8 v[22:23], v5 th:TH_STORE_NT
	s_wait_xcnt 0x0
	s_and_not1_b32 exec_lo, exec_lo, s29
	s_cbranch_execnz .LBB16_350
.LBB16_351:                             ;   in Loop: Header=BB16_255 Depth=2
	s_or_b32 exec_lo, exec_lo, s13
	v_cmp_lt_i32_e64 s13, 0, v3
	s_and_saveexec_b32 s29, s1
	s_cbranch_execz .LBB16_326
.LBB16_352:                             ;   in Loop: Header=BB16_255 Depth=2
	s_and_saveexec_b32 s40, s2
	s_delay_alu instid0(SALU_CYCLE_1)
	s_xor_b32 s40, exec_lo, s40
	s_cbranch_execz .LBB16_367
; %bb.353:                              ;   in Loop: Header=BB16_255 Depth=2
	s_and_saveexec_b32 s41, s5
	s_cbranch_execz .LBB16_366
; %bb.354:                              ;   in Loop: Header=BB16_255 Depth=2
	s_mov_b32 s43, exec_lo
	s_mov_b32 s42, exec_lo
	v_mbcnt_lo_u32_b32 v3, s43, 0
	global_wb scope:SCOPE_DEV
	s_wait_storecnt 0x0
	s_wait_loadcnt_dscnt 0x0
	global_inv scope:SCOPE_DEV
	v_cmpx_eq_u32_e32 0, v3
	s_cbranch_execz .LBB16_356
; %bb.355:                              ;   in Loop: Header=BB16_255 Depth=2
	s_bcnt1_i32_b32 s43, s43
	s_delay_alu instid0(SALU_CYCLE_1)
	v_mov_b32_e32 v48, s43
	s_wait_loadcnt 0x0
	ds_add_u64 v0, v[48:49]
	s_trap 2
.LBB16_356:                             ;   in Loop: Header=BB16_255 Depth=2
	s_or_b32 exec_lo, exec_lo, s42
	s_trap 2
	ds_load_b64 v[22:23], v0
	s_wait_dscnt 0x0
	v_add_nc_u64_e32 v[14:15], v[14:15], v[50:51]
	s_mov_b32 s42, exec_lo
	s_delay_alu instid0(VALU_DEP_1)
	v_cmpx_lt_u64_e64 v[22:23], v[14:15]
	s_cbranch_execz .LBB16_365
; %bb.357:                              ;   in Loop: Header=BB16_255 Depth=2
	s_mov_b32 s43, 0
	s_mov_b32 s46, 0
                                        ; implicit-def: $sgpr44
                                        ; implicit-def: $sgpr45
	s_branch .LBB16_359
.LBB16_358:                             ;   in Loop: Header=BB16_359 Depth=3
	s_or_b32 exec_lo, exec_lo, s56
	s_delay_alu instid0(SALU_CYCLE_1) | instskip(NEXT) | instid1(SALU_CYCLE_1)
	s_and_b32 s47, exec_lo, s57
	s_or_b32 s43, s47, s43
	s_and_not1_b32 s44, s44, exec_lo
	s_and_b32 s47, s45, exec_lo
	s_delay_alu instid0(SALU_CYCLE_1)
	s_or_b32 s44, s44, s47
	s_and_not1_b32 exec_lo, exec_lo, s43
	s_cbranch_execz .LBB16_363
.LBB16_359:                             ;   Parent Loop BB16_73 Depth=1
                                        ;     Parent Loop BB16_255 Depth=2
                                        ; =>    This Inner Loop Header: Depth=3
	s_add_co_i32 s46, s46, 1
	s_delay_alu instid0(SALU_CYCLE_1) | instskip(SKIP_1) | instid1(SALU_CYCLE_1)
	s_cmp_lg_u32 s46, 0x2710
	s_cselect_b32 s47, -1, 0
	s_and_b32 vcc_lo, exec_lo, s47
	s_cbranch_vccz .LBB16_361
; %bb.360:                              ;   in Loop: Header=BB16_359 Depth=3
	s_mov_b32 s57, -1
	s_or_b32 s45, s45, exec_lo
	s_and_saveexec_b32 s56, s47
	s_cbranch_execz .LBB16_358
	s_branch .LBB16_362
.LBB16_361:                             ;   in Loop: Header=BB16_359 Depth=3
	s_trap 2
	ds_load_b64 v[22:23], v0
	s_and_not1_b32 s47, s47, exec_lo
	s_mov_b32 s46, 0
	s_wait_loadcnt_dscnt 0x0
	flat_load_b32 v3, v[22:23] scope:SCOPE_SYS
	s_wait_loadcnt_dscnt 0x0
	global_inv scope:SCOPE_SYS
	v_cmp_eq_u32_e32 vcc_lo, 0, v3
	s_and_b32 s56, vcc_lo, exec_lo
	s_delay_alu instid0(SALU_CYCLE_1)
	s_or_b32 s47, s47, s56
	s_mov_b32 s57, -1
	s_or_b32 s45, s45, exec_lo
	s_and_saveexec_b32 s56, s47
	s_cbranch_execz .LBB16_358
.LBB16_362:                             ;   in Loop: Header=BB16_359 Depth=3
	s_sleep 1
	s_trap 2
	ds_load_b64 v[22:23], v0
	s_wait_dscnt 0x0
	s_and_not1_b32 s45, s45, exec_lo
	v_cmp_ge_u64_e32 vcc_lo, v[22:23], v[14:15]
	s_or_not1_b32 s57, vcc_lo, exec_lo
	s_branch .LBB16_358
.LBB16_363:                             ;   in Loop: Header=BB16_255 Depth=2
	s_or_b32 exec_lo, exec_lo, s43
	s_and_saveexec_b32 s43, s44
	s_delay_alu instid0(SALU_CYCLE_1)
	s_xor_b32 s43, exec_lo, s43
	s_cbranch_execz .LBB16_365
; %bb.364:                              ;   in Loop: Header=BB16_255 Depth=2
	ds_store_b32 v0, v58
	s_trap 2
.LBB16_365:                             ;   in Loop: Header=BB16_255 Depth=2
	s_or_b32 exec_lo, exec_lo, s42
	;;#ASMSTART
	s_wakeup
	;;#ASMEND
.LBB16_366:                             ;   in Loop: Header=BB16_255 Depth=2
	s_or_b32 exec_lo, exec_lo, s41
.LBB16_367:                             ;   in Loop: Header=BB16_255 Depth=2
	s_and_not1_saveexec_b32 s40, s40
	s_cbranch_execz .LBB16_369
; %bb.368:                              ;   in Loop: Header=BB16_255 Depth=2
	global_wb scope:SCOPE_DEV
	s_wait_storecnt 0x0
	s_wait_loadcnt_dscnt 0x0
	global_inv scope:SCOPE_DEV
	s_barrier_signal -1
	s_barrier_wait -1
.LBB16_369:                             ;   in Loop: Header=BB16_255 Depth=2
	s_or_b32 exec_lo, exec_lo, s40
	s_delay_alu instid0(SALU_CYCLE_1) | instskip(SKIP_1) | instid1(SALU_CYCLE_1)
	s_or_b32 exec_lo, exec_lo, s29
                                        ; implicit-def: $vgpr3
	s_and_saveexec_b32 s29, s10
	s_xor_b32 s29, exec_lo, s29
	s_cbranch_execnz .LBB16_327
.LBB16_370:                             ;   in Loop: Header=BB16_255 Depth=2
	s_and_not1_saveexec_b32 s13, s29
	s_cbranch_execz .LBB16_389
.LBB16_371:                             ;   in Loop: Header=BB16_255 Depth=2
	s_and_saveexec_b32 s29, s2
	s_delay_alu instid0(SALU_CYCLE_1)
	s_xor_b32 s29, exec_lo, s29
	s_cbranch_execz .LBB16_386
; %bb.372:                              ;   in Loop: Header=BB16_255 Depth=2
	s_and_saveexec_b32 s40, s5
	s_cbranch_execz .LBB16_385
; %bb.373:                              ;   in Loop: Header=BB16_255 Depth=2
	s_mov_b32 s42, exec_lo
	s_mov_b32 s41, exec_lo
	v_mbcnt_lo_u32_b32 v3, s42, 0
	;;#ASMSTART
	s_waitcnt lgkmcnt(0) vmcnt(0)
	;;#ASMEND
	s_delay_alu instid0(VALU_DEP_1)
	v_cmpx_eq_u32_e32 0, v3
	s_cbranch_execz .LBB16_375
; %bb.374:                              ;   in Loop: Header=BB16_255 Depth=2
	s_bcnt1_i32_b32 s42, s42
	s_delay_alu instid0(SALU_CYCLE_1)
	v_mov_b32_e32 v48, s42
	s_wait_storecnt 0x0
	s_wait_loadcnt_dscnt 0x0
	ds_add_u64 v0, v[48:49]
	s_trap 2
.LBB16_375:                             ;   in Loop: Header=BB16_255 Depth=2
	s_or_b32 exec_lo, exec_lo, s41
	s_trap 2
	ds_load_b64 v[22:23], v0
	s_wait_dscnt 0x0
	v_add_nc_u64_e32 v[14:15], v[14:15], v[50:51]
	s_mov_b32 s41, exec_lo
	s_delay_alu instid0(VALU_DEP_1)
	v_cmpx_lt_u64_e64 v[22:23], v[14:15]
	s_cbranch_execz .LBB16_384
; %bb.376:                              ;   in Loop: Header=BB16_255 Depth=2
	s_mov_b32 s42, 0
	s_mov_b32 s45, 0
                                        ; implicit-def: $sgpr43
                                        ; implicit-def: $sgpr44
	s_branch .LBB16_378
.LBB16_377:                             ;   in Loop: Header=BB16_378 Depth=3
	s_or_b32 exec_lo, exec_lo, s47
	s_delay_alu instid0(SALU_CYCLE_1) | instskip(NEXT) | instid1(SALU_CYCLE_1)
	s_and_b32 s46, exec_lo, s56
	s_or_b32 s42, s46, s42
	s_and_not1_b32 s43, s43, exec_lo
	s_and_b32 s46, s44, exec_lo
	s_delay_alu instid0(SALU_CYCLE_1)
	s_or_b32 s43, s43, s46
	s_and_not1_b32 exec_lo, exec_lo, s42
	s_cbranch_execz .LBB16_382
.LBB16_378:                             ;   Parent Loop BB16_73 Depth=1
                                        ;     Parent Loop BB16_255 Depth=2
                                        ; =>    This Inner Loop Header: Depth=3
	s_add_co_i32 s45, s45, 1
	s_delay_alu instid0(SALU_CYCLE_1) | instskip(SKIP_1) | instid1(SALU_CYCLE_1)
	s_cmp_lg_u32 s45, 0x2710
	s_cselect_b32 s46, -1, 0
	s_and_b32 vcc_lo, exec_lo, s46
	s_cbranch_vccz .LBB16_380
; %bb.379:                              ;   in Loop: Header=BB16_378 Depth=3
	s_mov_b32 s56, -1
	s_or_b32 s44, s44, exec_lo
	s_and_saveexec_b32 s47, s46
	s_cbranch_execz .LBB16_377
	s_branch .LBB16_381
.LBB16_380:                             ;   in Loop: Header=BB16_378 Depth=3
	s_trap 2
	ds_load_b64 v[22:23], v0
	s_and_not1_b32 s46, s46, exec_lo
	s_mov_b32 s45, 0
	s_wait_storecnt 0x0
	s_wait_loadcnt_dscnt 0x0
	flat_load_b32 v3, v[22:23] scope:SCOPE_SYS
	s_wait_loadcnt_dscnt 0x0
	global_inv scope:SCOPE_SYS
	v_cmp_eq_u32_e32 vcc_lo, 0, v3
	s_and_b32 s47, vcc_lo, exec_lo
	s_delay_alu instid0(SALU_CYCLE_1)
	s_or_b32 s46, s46, s47
	s_mov_b32 s56, -1
	s_or_b32 s44, s44, exec_lo
	s_and_saveexec_b32 s47, s46
	s_cbranch_execz .LBB16_377
.LBB16_381:                             ;   in Loop: Header=BB16_378 Depth=3
	s_sleep 1
	s_trap 2
	ds_load_b64 v[22:23], v0
	s_wait_dscnt 0x0
	s_and_not1_b32 s44, s44, exec_lo
	v_cmp_ge_u64_e32 vcc_lo, v[22:23], v[14:15]
	s_or_not1_b32 s56, vcc_lo, exec_lo
	s_branch .LBB16_377
.LBB16_382:                             ;   in Loop: Header=BB16_255 Depth=2
	s_or_b32 exec_lo, exec_lo, s42
	s_and_saveexec_b32 s42, s43
	s_delay_alu instid0(SALU_CYCLE_1)
	s_xor_b32 s42, exec_lo, s42
	s_cbranch_execz .LBB16_384
; %bb.383:                              ;   in Loop: Header=BB16_255 Depth=2
	ds_store_b32 v0, v58
	s_trap 2
.LBB16_384:                             ;   in Loop: Header=BB16_255 Depth=2
	s_or_b32 exec_lo, exec_lo, s41
	;;#ASMSTART
	s_wakeup
	;;#ASMEND
.LBB16_385:                             ;   in Loop: Header=BB16_255 Depth=2
	s_or_b32 exec_lo, exec_lo, s40
.LBB16_386:                             ;   in Loop: Header=BB16_255 Depth=2
	s_and_not1_saveexec_b32 s29, s29
	s_cbranch_execz .LBB16_388
; %bb.387:                              ;   in Loop: Header=BB16_255 Depth=2
	;;#ASMSTART
	s_waitcnt lgkmcnt(0) vmcnt(0)
	;;#ASMEND
	s_barrier_signal -1
	s_barrier_wait -1
.LBB16_388:                             ;   in Loop: Header=BB16_255 Depth=2
	s_or_b32 exec_lo, exec_lo, s29
	v_and_b32_e32 v3, 16, v30
.LBB16_389:                             ;   in Loop: Header=BB16_255 Depth=2
	s_or_b32 exec_lo, exec_lo, s13
	s_delay_alu instid0(SALU_CYCLE_1) | instskip(NEXT) | instid1(VALU_DEP_1)
	s_mov_b32 s13, exec_lo
	v_cmpx_ne_u32_e32 0, v3
	s_cbranch_execz .LBB16_254
; %bb.390:                              ;   in Loop: Header=BB16_255 Depth=2
	s_and_saveexec_b32 s29, s4
	s_cbranch_execz .LBB16_253
; %bb.391:                              ;   in Loop: Header=BB16_255 Depth=2
	global_wb scope:SCOPE_SYS
	s_wait_storecnt 0x0
	s_wait_loadcnt_dscnt 0x0
	flat_store_b32 v[34:35], v58 scope:SCOPE_SYS
	s_branch .LBB16_253
.LBB16_392:                             ;   in Loop: Header=BB16_73 Depth=1
	s_or_b32 exec_lo, exec_lo, s40
.LBB16_393:                             ;   in Loop: Header=BB16_73 Depth=1
	s_delay_alu instid0(SALU_CYCLE_1) | instskip(NEXT) | instid1(SALU_CYCLE_1)
	s_or_b32 exec_lo, exec_lo, s29
	s_mov_b32 s14, exec_lo
	v_cmpx_gt_i32_e32 2, v2
	s_cbranch_execz .LBB16_537
; %bb.394:                              ;   in Loop: Header=BB16_73 Depth=1
	v_cmp_eq_u32_e64 s16, 0, v2
	s_mov_b32 s15, 0
	s_branch .LBB16_397
.LBB16_395:                             ;   in Loop: Header=BB16_397 Depth=2
	s_wait_xcnt 0x0
	s_or_b32 exec_lo, exec_lo, s16
	v_add_nc_u64_e32 v[98:99], 2, v[98:99]
	global_wb scope:SCOPE_SYS
	s_wait_storecnt 0x0
	s_wait_loadcnt_dscnt 0x0
	flat_store_b64 v[26:27], v[98:99] scope:SCOPE_SYS
.LBB16_396:                             ;   in Loop: Header=BB16_397 Depth=2
	s_wait_xcnt 0x0
	s_or_b32 exec_lo, exec_lo, s13
	v_add_nc_u32_e32 v102, v112, v102
	s_mov_b32 s16, 0
	s_and_not1_b32 exec_lo, exec_lo, s15
	s_cbranch_execz .LBB16_536
.LBB16_397:                             ;   Parent Loop BB16_73 Depth=1
                                        ; =>  This Loop Header: Depth=2
                                        ;       Child Loop BB16_403 Depth 3
                                        ;       Child Loop BB16_427 Depth 3
	;; [unrolled: 1-line block ×3, first 2 shown]
	s_delay_alu instid0(VALU_DEP_1) | instskip(SKIP_2) | instid1(VALU_DEP_2)
	v_sub_nc_u32_e32 v2, v63, v102
	v_and_b32_e32 v3, 8, v30
	s_mov_b32 s17, exec_lo
	v_min_i32_e32 v112, v112, v2
	s_delay_alu instid0(VALU_DEP_2)
	v_cmpx_ne_u32_e32 0, v3
	s_cbranch_execz .LBB16_419
; %bb.398:                              ;   in Loop: Header=BB16_397 Depth=2
	s_wait_loadcnt_dscnt 0x1
	v_add_nc_u64_e32 v[4:5], 8, v[36:37]
	v_add_nc_u64_e32 v[2:3], 2, v[98:99]
	s_mov_b32 s29, exec_lo
	s_delay_alu instid0(VALU_DEP_1)
	v_cmpx_lt_u64_e64 v[4:5], v[2:3]
	s_cbranch_execz .LBB16_410
; %bb.399:                              ;   in Loop: Header=BB16_397 Depth=2
	v_and_b32_e32 v4, 64, v30
	s_mov_b32 s40, 0
	s_mov_b32 s44, 0
                                        ; implicit-def: $sgpr41
                                        ; implicit-def: $sgpr42
                                        ; implicit-def: $sgpr43
	s_delay_alu instid0(VALU_DEP_1)
	v_cmp_eq_u32_e32 vcc_lo, 0, v4
	s_branch .LBB16_403
.LBB16_400:                             ;   in Loop: Header=BB16_403 Depth=3
	s_wait_loadcnt_dscnt 0x0
	v_add_nc_u64_e32 v[22:23], 8, v[36:37]
	s_or_b32 s47, s47, exec_lo
	s_delay_alu instid0(VALU_DEP_1)
	v_cmp_ge_u64_e64 s13, v[22:23], v[2:3]
	s_or_not1_b32 s46, s13, exec_lo
.LBB16_401:                             ;   in Loop: Header=BB16_403 Depth=3
	s_or_b32 exec_lo, exec_lo, s57
	s_delay_alu instid0(SALU_CYCLE_1)
	s_and_not1_b32 s13, s43, exec_lo
	s_and_b32 s43, s47, exec_lo
	s_and_not1_b32 s42, s42, exec_lo
	s_and_b32 s46, s46, exec_lo
	s_or_b32 s43, s13, s43
	s_or_b32 s42, s42, s46
.LBB16_402:                             ;   in Loop: Header=BB16_403 Depth=3
	s_or_b32 exec_lo, exec_lo, s45
	s_delay_alu instid0(SALU_CYCLE_1) | instskip(NEXT) | instid1(SALU_CYCLE_1)
	s_and_b32 s13, exec_lo, s42
	s_or_b32 s40, s13, s40
	s_and_not1_b32 s13, s41, exec_lo
	s_and_b32 s41, s43, exec_lo
	s_delay_alu instid0(SALU_CYCLE_1)
	s_or_b32 s41, s13, s41
	s_and_not1_b32 exec_lo, exec_lo, s40
	s_cbranch_execz .LBB16_407
.LBB16_403:                             ;   Parent Loop BB16_73 Depth=1
                                        ;     Parent Loop BB16_397 Depth=2
                                        ; =>    This Inner Loop Header: Depth=3
	s_sleep 1
	s_wait_loadcnt_dscnt 0x0
	flat_load_b64 v[36:37], v[26:27] scope:SCOPE_SYS
	s_or_b32 s43, s43, exec_lo
	s_or_b32 s42, s42, exec_lo
                                        ; implicit-def: $vgpr4
	s_wait_xcnt 0x0
	s_and_saveexec_b32 s45, vcc_lo
	s_cbranch_execz .LBB16_402
; %bb.404:                              ;   in Loop: Header=BB16_403 Depth=3
	s_cmp_lt_i32 s44, 0x270f
	s_mov_b32 s46, -1
	s_cselect_b32 s56, -1, 0
	s_cmp_gt_i32 s44, 0x270e
	s_cbranch_scc0 .LBB16_406
; %bb.405:                              ;   in Loop: Header=BB16_403 Depth=3
	s_trap 2
	ds_load_b64 v[4:5], v0
	s_and_not1_b32 s44, s56, exec_lo
	s_mov_b32 s47, 0
	s_wait_storecnt 0x0
	s_wait_loadcnt_dscnt 0x0
	flat_load_b32 v4, v[4:5] scope:SCOPE_SYS
	s_wait_loadcnt_dscnt 0x0
	global_inv scope:SCOPE_SYS
	v_cmp_eq_u32_e64 s13, 0, v4
	s_and_b32 s13, s13, exec_lo
	s_delay_alu instid0(SALU_CYCLE_1)
	s_or_b32 s56, s44, s13
	s_mov_b32 s44, 0
	s_and_saveexec_b32 s57, s56
	s_cbranch_execz .LBB16_401
	s_branch .LBB16_400
.LBB16_406:                             ;   in Loop: Header=BB16_403 Depth=3
	s_add_co_i32 s44, s44, 1
	s_mov_b32 s47, -1
                                        ; implicit-def: $vgpr4
	s_and_saveexec_b32 s57, s56
	s_cbranch_execz .LBB16_401
	s_branch .LBB16_400
.LBB16_407:                             ;   in Loop: Header=BB16_397 Depth=2
	s_or_b32 exec_lo, exec_lo, s40
	s_xor_b32 s13, s41, -1
	s_delay_alu instid0(SALU_CYCLE_1) | instskip(NEXT) | instid1(SALU_CYCLE_1)
	s_and_saveexec_b32 s40, s13
	s_xor_b32 s13, exec_lo, s40
	s_cbranch_execz .LBB16_409
; %bb.408:                              ;   in Loop: Header=BB16_397 Depth=2
	v_or_b32_e32 v30, 64, v30
	s_wait_storecnt 0x0
	s_wait_loadcnt_dscnt 0x0
	ds_store_b32 v0, v4
	s_trap 2
.LBB16_409:                             ;   in Loop: Header=BB16_397 Depth=2
	s_or_b32 exec_lo, exec_lo, s13
.LBB16_410:                             ;   in Loop: Header=BB16_397 Depth=2
	s_delay_alu instid0(SALU_CYCLE_1) | instskip(SKIP_4) | instid1(VALU_DEP_2)
	s_or_b32 exec_lo, exec_lo, s29
	v_and_b32_e32 v4, 0x100, v30
	v_and_b32_e32 v48, 7, v98
	s_mov_b32 s13, -1
	;;#ASMSTART
	s_wakeup
	;;#ASMEND
	v_cmp_ne_u32_e32 vcc_lo, 0, v4
                                        ; implicit-def: $vgpr4_vgpr5
	s_and_saveexec_b32 s29, vcc_lo
	s_cbranch_execz .LBB16_414
; %bb.411:                              ;   in Loop: Header=BB16_397 Depth=2
	v_mad_nc_u64_u32 v[98:99], v48, 24, v[12:13]
	v_ashrrev_i32_e32 v113, 31, v112
	s_clause 0x1
	flat_load_b32 v4, v[98:99]
	flat_store_b64 v[98:99], v[112:113] offset:8
	s_wait_loadcnt_dscnt 0x1
	v_cmp_eq_u32_e64 s13, 1, v4
	v_cmp_ne_u32_e32 vcc_lo, 1, v4
                                        ; implicit-def: $vgpr4_vgpr5
	s_wait_xcnt 0x0
	s_and_saveexec_b32 s40, s13
	s_cbranch_execz .LBB16_413
; %bb.412:                              ;   in Loop: Header=BB16_397 Depth=2
	flat_load_b32 v4, v[98:99] offset:4 scope:SCOPE_SYS
	s_wait_loadcnt_dscnt 0x0
	v_ashrrev_i32_e32 v5, 31, v4
.LBB16_413:                             ;   in Loop: Header=BB16_397 Depth=2
	s_wait_xcnt 0x0
	s_or_b32 exec_lo, exec_lo, s40
	s_delay_alu instid0(SALU_CYCLE_1)
	s_or_not1_b32 s13, vcc_lo, exec_lo
.LBB16_414:                             ;   in Loop: Header=BB16_397 Depth=2
	s_or_b32 exec_lo, exec_lo, s29
	s_and_saveexec_b32 s29, s13
; %bb.415:                              ;   in Loop: Header=BB16_397 Depth=2
	v_mul_u64_e32 v[4:5], v[48:49], v[28:29]
; %bb.416:                              ;   in Loop: Header=BB16_397 Depth=2
	s_or_b32 exec_lo, exec_lo, s29
	s_delay_alu instid0(VALU_DEP_1)
	v_add_nc_u64_e32 v[4:5], v[32:33], v[4:5]
	v_and_b32_e32 v22, 0x2000, v30
	s_mov_b32 s13, exec_lo
	ds_store_b64 v0, v[4:5] offset:792
	v_cmpx_ne_u32_e32 0, v22
	s_cbranch_execz .LBB16_418
; %bb.417:                              ;   in Loop: Header=BB16_397 Depth=2
	ds_load_b64 v[4:5], v0 offset:872
	s_wait_dscnt 0x0
	v_add_nc_u64_e32 v[4:5], 1, v[4:5]
	ds_store_b64 v0, v[4:5] offset:872
.LBB16_418:                             ;   in Loop: Header=BB16_397 Depth=2
	s_or_b32 exec_lo, exec_lo, s13
	v_mov_b64_e32 v[98:99], v[2:3]
.LBB16_419:                             ;   in Loop: Header=BB16_397 Depth=2
	s_or_b32 exec_lo, exec_lo, s17
	s_xor_b32 s13, s16, -1
	s_delay_alu instid0(SALU_CYCLE_1) | instskip(NEXT) | instid1(SALU_CYCLE_1)
	s_and_b32 s13, exec_lo, s13
	s_or_b32 s15, s13, s15
	s_and_saveexec_b32 s13, s1
	s_cbranch_execz .LBB16_438
; %bb.420:                              ;   in Loop: Header=BB16_397 Depth=2
	s_and_saveexec_b32 s16, s2
	s_delay_alu instid0(SALU_CYCLE_1)
	s_xor_b32 s16, exec_lo, s16
	s_cbranch_execz .LBB16_435
; %bb.421:                              ;   in Loop: Header=BB16_397 Depth=2
	s_and_saveexec_b32 s17, s5
	s_cbranch_execz .LBB16_434
; %bb.422:                              ;   in Loop: Header=BB16_397 Depth=2
	s_mov_b32 s40, exec_lo
	s_mov_b32 s29, exec_lo
	v_mbcnt_lo_u32_b32 v2, s40, 0
	global_wb scope:SCOPE_DEV
	s_wait_storecnt 0x0
	s_wait_loadcnt_dscnt 0x0
	global_inv scope:SCOPE_DEV
	v_cmpx_eq_u32_e32 0, v2
	s_cbranch_execz .LBB16_424
; %bb.423:                              ;   in Loop: Header=BB16_397 Depth=2
	s_bcnt1_i32_b32 s40, s40
	s_delay_alu instid0(SALU_CYCLE_1)
	v_mov_b32_e32 v48, s40
	s_wait_loadcnt 0x0
	ds_add_u64 v0, v[48:49]
	s_trap 2
.LBB16_424:                             ;   in Loop: Header=BB16_397 Depth=2
	s_or_b32 exec_lo, exec_lo, s29
	s_trap 2
	ds_load_b64 v[2:3], v0
	s_wait_dscnt 0x0
	v_add_nc_u64_e32 v[14:15], v[14:15], v[50:51]
	s_mov_b32 s29, exec_lo
	s_delay_alu instid0(VALU_DEP_1)
	v_cmpx_lt_u64_e64 v[2:3], v[14:15]
	s_cbranch_execz .LBB16_433
; %bb.425:                              ;   in Loop: Header=BB16_397 Depth=2
	s_mov_b32 s40, 0
	s_mov_b32 s43, 0
                                        ; implicit-def: $sgpr41
                                        ; implicit-def: $sgpr42
	s_branch .LBB16_427
.LBB16_426:                             ;   in Loop: Header=BB16_427 Depth=3
	s_or_b32 exec_lo, exec_lo, s45
	s_delay_alu instid0(SALU_CYCLE_1) | instskip(NEXT) | instid1(SALU_CYCLE_1)
	s_and_b32 s44, exec_lo, s46
	s_or_b32 s40, s44, s40
	s_and_not1_b32 s41, s41, exec_lo
	s_and_b32 s44, s42, exec_lo
	s_delay_alu instid0(SALU_CYCLE_1)
	s_or_b32 s41, s41, s44
	s_and_not1_b32 exec_lo, exec_lo, s40
	s_cbranch_execz .LBB16_431
.LBB16_427:                             ;   Parent Loop BB16_73 Depth=1
                                        ;     Parent Loop BB16_397 Depth=2
                                        ; =>    This Inner Loop Header: Depth=3
	s_add_co_i32 s43, s43, 1
	s_delay_alu instid0(SALU_CYCLE_1) | instskip(SKIP_1) | instid1(SALU_CYCLE_1)
	s_cmp_lg_u32 s43, 0x2710
	s_cselect_b32 s44, -1, 0
	s_and_b32 vcc_lo, exec_lo, s44
	s_cbranch_vccz .LBB16_429
; %bb.428:                              ;   in Loop: Header=BB16_427 Depth=3
	s_mov_b32 s46, -1
	s_or_b32 s42, s42, exec_lo
	s_and_saveexec_b32 s45, s44
	s_cbranch_execz .LBB16_426
	s_branch .LBB16_430
.LBB16_429:                             ;   in Loop: Header=BB16_427 Depth=3
	s_trap 2
	ds_load_b64 v[2:3], v0
	s_and_not1_b32 s44, s44, exec_lo
	s_mov_b32 s43, 0
	s_wait_loadcnt_dscnt 0x0
	flat_load_b32 v2, v[2:3] scope:SCOPE_SYS
	s_wait_loadcnt_dscnt 0x0
	global_inv scope:SCOPE_SYS
	v_cmp_eq_u32_e32 vcc_lo, 0, v2
	s_and_b32 s45, vcc_lo, exec_lo
	s_delay_alu instid0(SALU_CYCLE_1)
	s_or_b32 s44, s44, s45
	s_mov_b32 s46, -1
	s_or_b32 s42, s42, exec_lo
	s_and_saveexec_b32 s45, s44
	s_cbranch_execz .LBB16_426
.LBB16_430:                             ;   in Loop: Header=BB16_427 Depth=3
	s_sleep 1
	s_trap 2
	ds_load_b64 v[2:3], v0
	s_wait_dscnt 0x0
	s_and_not1_b32 s42, s42, exec_lo
	v_cmp_ge_u64_e32 vcc_lo, v[2:3], v[14:15]
	s_or_not1_b32 s46, vcc_lo, exec_lo
	s_branch .LBB16_426
.LBB16_431:                             ;   in Loop: Header=BB16_397 Depth=2
	s_or_b32 exec_lo, exec_lo, s40
	s_and_saveexec_b32 s40, s41
	s_delay_alu instid0(SALU_CYCLE_1)
	s_xor_b32 s40, exec_lo, s40
	s_cbranch_execz .LBB16_433
; %bb.432:                              ;   in Loop: Header=BB16_397 Depth=2
	ds_store_b32 v0, v58
	s_trap 2
.LBB16_433:                             ;   in Loop: Header=BB16_397 Depth=2
	s_or_b32 exec_lo, exec_lo, s29
	;;#ASMSTART
	s_wakeup
	;;#ASMEND
.LBB16_434:                             ;   in Loop: Header=BB16_397 Depth=2
	s_or_b32 exec_lo, exec_lo, s17
.LBB16_435:                             ;   in Loop: Header=BB16_397 Depth=2
	s_and_not1_saveexec_b32 s16, s16
	s_cbranch_execz .LBB16_437
; %bb.436:                              ;   in Loop: Header=BB16_397 Depth=2
	global_wb scope:SCOPE_DEV
	s_wait_storecnt 0x0
	s_wait_loadcnt_dscnt 0x0
	global_inv scope:SCOPE_DEV
	s_barrier_signal -1
	s_barrier_wait -1
.LBB16_437:                             ;   in Loop: Header=BB16_397 Depth=2
	s_or_b32 exec_lo, exec_lo, s16
.LBB16_438:                             ;   in Loop: Header=BB16_397 Depth=2
	s_delay_alu instid0(SALU_CYCLE_1) | instskip(SKIP_1) | instid1(SALU_CYCLE_1)
	s_or_b32 exec_lo, exec_lo, s13
                                        ; implicit-def: $vgpr2
	s_and_saveexec_b32 s13, s10
	s_xor_b32 s16, exec_lo, s13
	s_cbranch_execz .LBB16_442
; %bb.439:                              ;   in Loop: Header=BB16_397 Depth=2
	s_trap 2
	ds_load_b32 v2, v0
	v_cmp_lt_i32_e32 vcc_lo, 0, v112
	s_wait_dscnt 0x0
	v_readfirstlane_b32 s13, v2
	v_and_b32_e32 v2, 16, v30
	s_cmp_eq_u32 s13, 0
	s_delay_alu instid0(VALU_DEP_1) | instskip(SKIP_3) | instid1(SALU_CYCLE_1)
	v_cmp_ne_u32_e64 s13, 0, v2
	s_cselect_b32 s17, -1, 0
	v_and_b32_e32 v2, 16, v30
	s_and_b32 s17, vcc_lo, s17
	s_and_b32 s17, s13, s17
	s_delay_alu instid0(SALU_CYCLE_1)
	s_and_saveexec_b32 s13, s17
	s_cbranch_execz .LBB16_441
; %bb.440:                              ;   in Loop: Header=BB16_397 Depth=2
	v_mov_b32_e32 v2, 1
	global_wb scope:SCOPE_SYS
	s_wait_loadcnt 0x0
	s_wait_storecnt 0x0
	global_inv scope:SCOPE_SYS
.LBB16_441:                             ;   in Loop: Header=BB16_397 Depth=2
	s_or_b32 exec_lo, exec_lo, s13
	s_and_not1_saveexec_b32 s13, s16
	s_cbranch_execz .LBB16_461
	s_branch .LBB16_443
.LBB16_442:                             ;   in Loop: Header=BB16_397 Depth=2
	s_and_not1_saveexec_b32 s13, s16
	s_cbranch_execz .LBB16_461
.LBB16_443:                             ;   in Loop: Header=BB16_397 Depth=2
	s_and_saveexec_b32 s16, s2
	s_delay_alu instid0(SALU_CYCLE_1)
	s_xor_b32 s16, exec_lo, s16
	s_cbranch_execz .LBB16_458
; %bb.444:                              ;   in Loop: Header=BB16_397 Depth=2
	s_and_saveexec_b32 s17, s5
	s_cbranch_execz .LBB16_457
; %bb.445:                              ;   in Loop: Header=BB16_397 Depth=2
	s_mov_b32 s40, exec_lo
	s_mov_b32 s29, exec_lo
	v_mbcnt_lo_u32_b32 v2, s40, 0
	;;#ASMSTART
	s_waitcnt lgkmcnt(0) vmcnt(0)
	;;#ASMEND
	s_delay_alu instid0(VALU_DEP_1)
	v_cmpx_eq_u32_e32 0, v2
	s_cbranch_execz .LBB16_447
; %bb.446:                              ;   in Loop: Header=BB16_397 Depth=2
	s_bcnt1_i32_b32 s40, s40
	s_delay_alu instid0(SALU_CYCLE_1)
	v_mov_b32_e32 v48, s40
	s_wait_storecnt 0x0
	s_wait_loadcnt_dscnt 0x0
	ds_add_u64 v0, v[48:49]
	s_trap 2
.LBB16_447:                             ;   in Loop: Header=BB16_397 Depth=2
	s_or_b32 exec_lo, exec_lo, s29
	s_trap 2
	ds_load_b64 v[2:3], v0
	s_wait_dscnt 0x0
	v_add_nc_u64_e32 v[14:15], v[14:15], v[50:51]
	s_mov_b32 s29, exec_lo
	s_delay_alu instid0(VALU_DEP_1)
	v_cmpx_lt_u64_e64 v[2:3], v[14:15]
	s_cbranch_execz .LBB16_456
; %bb.448:                              ;   in Loop: Header=BB16_397 Depth=2
	s_mov_b32 s40, 0
	s_mov_b32 s43, 0
                                        ; implicit-def: $sgpr41
                                        ; implicit-def: $sgpr42
	s_branch .LBB16_450
.LBB16_449:                             ;   in Loop: Header=BB16_450 Depth=3
	s_or_b32 exec_lo, exec_lo, s45
	s_delay_alu instid0(SALU_CYCLE_1) | instskip(NEXT) | instid1(SALU_CYCLE_1)
	s_and_b32 s44, exec_lo, s46
	s_or_b32 s40, s44, s40
	s_and_not1_b32 s41, s41, exec_lo
	s_and_b32 s44, s42, exec_lo
	s_delay_alu instid0(SALU_CYCLE_1)
	s_or_b32 s41, s41, s44
	s_and_not1_b32 exec_lo, exec_lo, s40
	s_cbranch_execz .LBB16_454
.LBB16_450:                             ;   Parent Loop BB16_73 Depth=1
                                        ;     Parent Loop BB16_397 Depth=2
                                        ; =>    This Inner Loop Header: Depth=3
	s_add_co_i32 s43, s43, 1
	s_delay_alu instid0(SALU_CYCLE_1) | instskip(SKIP_1) | instid1(SALU_CYCLE_1)
	s_cmp_lg_u32 s43, 0x2710
	s_cselect_b32 s44, -1, 0
	s_and_b32 vcc_lo, exec_lo, s44
	s_cbranch_vccz .LBB16_452
; %bb.451:                              ;   in Loop: Header=BB16_450 Depth=3
	s_mov_b32 s46, -1
	s_or_b32 s42, s42, exec_lo
	s_and_saveexec_b32 s45, s44
	s_cbranch_execz .LBB16_449
	s_branch .LBB16_453
.LBB16_452:                             ;   in Loop: Header=BB16_450 Depth=3
	s_trap 2
	ds_load_b64 v[2:3], v0
	s_and_not1_b32 s44, s44, exec_lo
	s_mov_b32 s43, 0
	s_wait_storecnt 0x0
	s_wait_loadcnt_dscnt 0x0
	flat_load_b32 v2, v[2:3] scope:SCOPE_SYS
	s_wait_loadcnt_dscnt 0x0
	global_inv scope:SCOPE_SYS
	v_cmp_eq_u32_e32 vcc_lo, 0, v2
	s_and_b32 s45, vcc_lo, exec_lo
	s_delay_alu instid0(SALU_CYCLE_1)
	s_or_b32 s44, s44, s45
	s_mov_b32 s46, -1
	s_or_b32 s42, s42, exec_lo
	s_and_saveexec_b32 s45, s44
	s_cbranch_execz .LBB16_449
.LBB16_453:                             ;   in Loop: Header=BB16_450 Depth=3
	s_sleep 1
	s_trap 2
	ds_load_b64 v[2:3], v0
	s_wait_dscnt 0x0
	s_and_not1_b32 s42, s42, exec_lo
	v_cmp_ge_u64_e32 vcc_lo, v[2:3], v[14:15]
	s_or_not1_b32 s46, vcc_lo, exec_lo
	s_branch .LBB16_449
.LBB16_454:                             ;   in Loop: Header=BB16_397 Depth=2
	s_or_b32 exec_lo, exec_lo, s40
	s_and_saveexec_b32 s40, s41
	s_delay_alu instid0(SALU_CYCLE_1)
	s_xor_b32 s40, exec_lo, s40
	s_cbranch_execz .LBB16_456
; %bb.455:                              ;   in Loop: Header=BB16_397 Depth=2
	ds_store_b32 v0, v58
	s_trap 2
.LBB16_456:                             ;   in Loop: Header=BB16_397 Depth=2
	s_or_b32 exec_lo, exec_lo, s29
	;;#ASMSTART
	s_wakeup
	;;#ASMEND
.LBB16_457:                             ;   in Loop: Header=BB16_397 Depth=2
	s_or_b32 exec_lo, exec_lo, s17
.LBB16_458:                             ;   in Loop: Header=BB16_397 Depth=2
	s_and_not1_saveexec_b32 s16, s16
	s_cbranch_execz .LBB16_460
; %bb.459:                              ;   in Loop: Header=BB16_397 Depth=2
	;;#ASMSTART
	s_waitcnt lgkmcnt(0) vmcnt(0)
	;;#ASMEND
	s_barrier_signal -1
	s_barrier_wait -1
.LBB16_460:                             ;   in Loop: Header=BB16_397 Depth=2
	s_or_b32 exec_lo, exec_lo, s16
	v_and_b32_e32 v2, 16, v30
.LBB16_461:                             ;   in Loop: Header=BB16_397 Depth=2
	s_or_b32 exec_lo, exec_lo, s13
	s_delay_alu instid0(SALU_CYCLE_1) | instskip(NEXT) | instid1(VALU_DEP_1)
	s_mov_b32 s13, exec_lo
	v_cmpx_ne_u32_e32 0, v2
	s_cbranch_execz .LBB16_396
; %bb.462:                              ;   in Loop: Header=BB16_397 Depth=2
	s_and_saveexec_b32 s16, s4
	s_cbranch_execz .LBB16_395
; %bb.463:                              ;   in Loop: Header=BB16_397 Depth=2
	global_wb scope:SCOPE_SYS
	s_wait_storecnt 0x0
	s_wait_loadcnt_dscnt 0x0
	flat_store_b32 v[34:35], v58 scope:SCOPE_SYS
	s_branch .LBB16_395
.LBB16_464:                             ;   in Loop: Header=BB16_73 Depth=1
	s_or_b32 exec_lo, exec_lo, s16
.LBB16_465:                             ;   in Loop: Header=BB16_73 Depth=1
	s_delay_alu instid0(SALU_CYCLE_1) | instskip(NEXT) | instid1(SALU_CYCLE_1)
	s_or_b32 exec_lo, exec_lo, s15
	s_mov_b32 s15, exec_lo
	v_cmpx_gt_i32_e32 2, v3
	s_cbranch_execz .LBB16_540
; %bb.466:                              ;   in Loop: Header=BB16_73 Depth=1
	v_cmp_eq_u32_e64 s17, 0, v3
	s_mov_b32 s16, 0
	s_branch .LBB16_469
.LBB16_467:                             ;   in Loop: Header=BB16_469 Depth=2
	s_wait_xcnt 0x0
	s_or_b32 exec_lo, exec_lo, s17
	v_add_nc_u64_e32 v[98:99], 2, v[98:99]
	global_wb scope:SCOPE_SYS
	s_wait_storecnt 0x0
	s_wait_loadcnt_dscnt 0x0
	flat_store_b64 v[26:27], v[98:99] scope:SCOPE_SYS
.LBB16_468:                             ;   in Loop: Header=BB16_469 Depth=2
	s_wait_xcnt 0x0
	s_or_b32 exec_lo, exec_lo, s13
	v_add_nc_u32_e32 v2, v4, v2
	s_mov_b32 s17, 0
	s_and_not1_b32 exec_lo, exec_lo, s16
	s_cbranch_execz .LBB16_539
.LBB16_469:                             ;   Parent Loop BB16_73 Depth=1
                                        ; =>  This Loop Header: Depth=2
                                        ;       Child Loop BB16_475 Depth 3
                                        ;       Child Loop BB16_499 Depth 3
	;; [unrolled: 1-line block ×3, first 2 shown]
	s_delay_alu instid0(VALU_DEP_1) | instskip(SKIP_2) | instid1(VALU_DEP_2)
	v_sub_nc_u32_e32 v3, v63, v2
	v_and_b32_e32 v5, 8, v30
	s_mov_b32 s28, exec_lo
	v_min_i32_e32 v4, v4, v3
	s_delay_alu instid0(VALU_DEP_2)
	v_cmpx_ne_u32_e32 0, v5
	s_cbranch_execz .LBB16_491
; %bb.470:                              ;   in Loop: Header=BB16_469 Depth=2
	s_wait_loadcnt_dscnt 0x1
	v_add_nc_u64_e32 v[22:23], 8, v[36:37]
	v_add_nc_u64_e32 v[102:103], 2, v[98:99]
	s_mov_b32 s29, exec_lo
	s_delay_alu instid0(VALU_DEP_1)
	v_cmpx_lt_u64_e64 v[22:23], v[102:103]
	s_cbranch_execz .LBB16_482
; %bb.471:                              ;   in Loop: Header=BB16_469 Depth=2
	v_and_b32_e32 v3, 64, v30
	s_mov_b32 s40, 0
	s_mov_b32 s44, 0
                                        ; implicit-def: $sgpr41
                                        ; implicit-def: $sgpr42
                                        ; implicit-def: $sgpr43
	s_delay_alu instid0(VALU_DEP_1)
	v_cmp_eq_u32_e32 vcc_lo, 0, v3
	s_branch .LBB16_475
.LBB16_472:                             ;   in Loop: Header=BB16_475 Depth=3
	s_wait_loadcnt_dscnt 0x0
	v_add_nc_u64_e32 v[22:23], 8, v[36:37]
	s_or_b32 s47, s47, exec_lo
	s_delay_alu instid0(VALU_DEP_1)
	v_cmp_ge_u64_e64 s13, v[22:23], v[102:103]
	s_or_not1_b32 s46, s13, exec_lo
.LBB16_473:                             ;   in Loop: Header=BB16_475 Depth=3
	s_or_b32 exec_lo, exec_lo, s57
	s_delay_alu instid0(SALU_CYCLE_1)
	s_and_not1_b32 s13, s43, exec_lo
	s_and_b32 s43, s47, exec_lo
	s_and_not1_b32 s42, s42, exec_lo
	s_and_b32 s46, s46, exec_lo
	s_or_b32 s43, s13, s43
	s_or_b32 s42, s42, s46
.LBB16_474:                             ;   in Loop: Header=BB16_475 Depth=3
	s_or_b32 exec_lo, exec_lo, s45
	s_delay_alu instid0(SALU_CYCLE_1) | instskip(NEXT) | instid1(SALU_CYCLE_1)
	s_and_b32 s13, exec_lo, s42
	s_or_b32 s40, s13, s40
	s_and_not1_b32 s13, s41, exec_lo
	s_and_b32 s41, s43, exec_lo
	s_delay_alu instid0(SALU_CYCLE_1)
	s_or_b32 s41, s13, s41
	s_and_not1_b32 exec_lo, exec_lo, s40
	s_cbranch_execz .LBB16_479
.LBB16_475:                             ;   Parent Loop BB16_73 Depth=1
                                        ;     Parent Loop BB16_469 Depth=2
                                        ; =>    This Inner Loop Header: Depth=3
	s_sleep 1
	s_wait_loadcnt_dscnt 0x0
	flat_load_b64 v[36:37], v[26:27] scope:SCOPE_SYS
	s_or_b32 s43, s43, exec_lo
	s_or_b32 s42, s42, exec_lo
                                        ; implicit-def: $vgpr3
	s_wait_xcnt 0x0
	s_and_saveexec_b32 s45, vcc_lo
	s_cbranch_execz .LBB16_474
; %bb.476:                              ;   in Loop: Header=BB16_475 Depth=3
	s_cmp_lt_i32 s44, 0x270f
	s_mov_b32 s46, -1
	s_cselect_b32 s56, -1, 0
	s_cmp_gt_i32 s44, 0x270e
	s_cbranch_scc0 .LBB16_478
; %bb.477:                              ;   in Loop: Header=BB16_475 Depth=3
	s_trap 2
	ds_load_b64 v[22:23], v0
	s_and_not1_b32 s44, s56, exec_lo
	s_mov_b32 s47, 0
	s_wait_storecnt 0x0
	s_wait_loadcnt_dscnt 0x0
	flat_load_b32 v3, v[22:23] scope:SCOPE_SYS
	s_wait_loadcnt_dscnt 0x0
	global_inv scope:SCOPE_SYS
	v_cmp_eq_u32_e64 s13, 0, v3
	s_and_b32 s13, s13, exec_lo
	s_delay_alu instid0(SALU_CYCLE_1)
	s_or_b32 s56, s44, s13
	s_mov_b32 s44, 0
	s_and_saveexec_b32 s57, s56
	s_cbranch_execz .LBB16_473
	s_branch .LBB16_472
.LBB16_478:                             ;   in Loop: Header=BB16_475 Depth=3
	s_add_co_i32 s44, s44, 1
	s_mov_b32 s47, -1
                                        ; implicit-def: $vgpr3
	s_and_saveexec_b32 s57, s56
	s_cbranch_execz .LBB16_473
	s_branch .LBB16_472
.LBB16_479:                             ;   in Loop: Header=BB16_469 Depth=2
	s_or_b32 exec_lo, exec_lo, s40
	s_xor_b32 s13, s41, -1
	s_delay_alu instid0(SALU_CYCLE_1) | instskip(NEXT) | instid1(SALU_CYCLE_1)
	s_and_saveexec_b32 s40, s13
	s_xor_b32 s13, exec_lo, s40
	s_cbranch_execz .LBB16_481
; %bb.480:                              ;   in Loop: Header=BB16_469 Depth=2
	v_or_b32_e32 v30, 64, v30
	s_wait_storecnt 0x0
	s_wait_loadcnt_dscnt 0x0
	ds_store_b32 v0, v3
	s_trap 2
.LBB16_481:                             ;   in Loop: Header=BB16_469 Depth=2
	s_or_b32 exec_lo, exec_lo, s13
.LBB16_482:                             ;   in Loop: Header=BB16_469 Depth=2
	s_delay_alu instid0(SALU_CYCLE_1)
	s_or_b32 exec_lo, exec_lo, s29
	v_and_b32_e32 v3, 0x100, v30
	v_and_b32_e32 v48, 7, v98
	s_mov_b32 s13, -1
	s_mov_b32 s29, exec_lo
	;;#ASMSTART
	s_wakeup
	;;#ASMEND
                                        ; implicit-def: $vgpr98_vgpr99
	v_cmpx_ne_u32_e32 0, v3
	s_cbranch_execz .LBB16_486
; %bb.483:                              ;   in Loop: Header=BB16_469 Depth=2
	v_mad_nc_u64_u32 v[112:113], v48, 24, v[12:13]
	v_ashrrev_i32_e32 v5, 31, v4
	s_mov_b32 s40, exec_lo
                                        ; implicit-def: $vgpr98_vgpr99
	s_clause 0x1
	flat_load_b32 v3, v[112:113]
	flat_store_b64 v[112:113], v[4:5] offset:8
	s_wait_loadcnt_dscnt 0x1
	v_cmp_ne_u32_e32 vcc_lo, 1, v3
	s_wait_xcnt 0x0
	v_cmpx_eq_u32_e32 1, v3
	s_cbranch_execz .LBB16_485
; %bb.484:                              ;   in Loop: Header=BB16_469 Depth=2
	flat_load_b32 v98, v[112:113] offset:4 scope:SCOPE_SYS
	s_wait_loadcnt_dscnt 0x0
	v_ashrrev_i32_e32 v99, 31, v98
.LBB16_485:                             ;   in Loop: Header=BB16_469 Depth=2
	s_wait_xcnt 0x0
	s_or_b32 exec_lo, exec_lo, s40
	s_delay_alu instid0(SALU_CYCLE_1)
	s_or_not1_b32 s13, vcc_lo, exec_lo
.LBB16_486:                             ;   in Loop: Header=BB16_469 Depth=2
	s_or_b32 exec_lo, exec_lo, s29
	s_and_saveexec_b32 s29, s13
; %bb.487:                              ;   in Loop: Header=BB16_469 Depth=2
	v_mul_u64_e32 v[98:99], v[48:49], v[28:29]
; %bb.488:                              ;   in Loop: Header=BB16_469 Depth=2
	s_or_b32 exec_lo, exec_lo, s29
	s_delay_alu instid0(VALU_DEP_1)
	v_add_nc_u64_e32 v[22:23], v[32:33], v[98:99]
	v_and_b32_e32 v3, 0x2000, v30
	s_mov_b32 s13, exec_lo
	ds_store_b64 v0, v[22:23] offset:784
	v_cmpx_ne_u32_e32 0, v3
	s_cbranch_execz .LBB16_490
; %bb.489:                              ;   in Loop: Header=BB16_469 Depth=2
	ds_load_b64 v[22:23], v0 offset:872
	s_wait_dscnt 0x0
	v_add_nc_u64_e32 v[22:23], 1, v[22:23]
	ds_store_b64 v0, v[22:23] offset:872
.LBB16_490:                             ;   in Loop: Header=BB16_469 Depth=2
	s_or_b32 exec_lo, exec_lo, s13
	v_mov_b64_e32 v[98:99], v[102:103]
.LBB16_491:                             ;   in Loop: Header=BB16_469 Depth=2
	s_or_b32 exec_lo, exec_lo, s28
	s_xor_b32 s13, s17, -1
	s_delay_alu instid0(SALU_CYCLE_1) | instskip(NEXT) | instid1(SALU_CYCLE_1)
	s_and_b32 s13, exec_lo, s13
	s_or_b32 s16, s13, s16
	s_and_saveexec_b32 s13, s1
	s_cbranch_execz .LBB16_510
; %bb.492:                              ;   in Loop: Header=BB16_469 Depth=2
	s_and_saveexec_b32 s17, s2
	s_delay_alu instid0(SALU_CYCLE_1)
	s_xor_b32 s17, exec_lo, s17
	s_cbranch_execz .LBB16_507
; %bb.493:                              ;   in Loop: Header=BB16_469 Depth=2
	s_and_saveexec_b32 s28, s5
	s_cbranch_execz .LBB16_506
; %bb.494:                              ;   in Loop: Header=BB16_469 Depth=2
	s_mov_b32 s40, exec_lo
	s_mov_b32 s29, exec_lo
	v_mbcnt_lo_u32_b32 v3, s40, 0
	global_wb scope:SCOPE_DEV
	s_wait_storecnt 0x0
	s_wait_loadcnt_dscnt 0x0
	global_inv scope:SCOPE_DEV
	v_cmpx_eq_u32_e32 0, v3
	s_cbranch_execz .LBB16_496
; %bb.495:                              ;   in Loop: Header=BB16_469 Depth=2
	s_bcnt1_i32_b32 s40, s40
	s_delay_alu instid0(SALU_CYCLE_1)
	v_mov_b32_e32 v48, s40
	s_wait_loadcnt 0x0
	ds_add_u64 v0, v[48:49]
	s_trap 2
.LBB16_496:                             ;   in Loop: Header=BB16_469 Depth=2
	s_or_b32 exec_lo, exec_lo, s29
	s_trap 2
	ds_load_b64 v[22:23], v0
	s_wait_dscnt 0x0
	v_add_nc_u64_e32 v[14:15], v[14:15], v[50:51]
	s_mov_b32 s29, exec_lo
	s_delay_alu instid0(VALU_DEP_1)
	v_cmpx_lt_u64_e64 v[22:23], v[14:15]
	s_cbranch_execz .LBB16_505
; %bb.497:                              ;   in Loop: Header=BB16_469 Depth=2
	s_mov_b32 s40, 0
	s_mov_b32 s43, 0
                                        ; implicit-def: $sgpr41
                                        ; implicit-def: $sgpr42
	s_branch .LBB16_499
.LBB16_498:                             ;   in Loop: Header=BB16_499 Depth=3
	s_or_b32 exec_lo, exec_lo, s45
	s_delay_alu instid0(SALU_CYCLE_1) | instskip(NEXT) | instid1(SALU_CYCLE_1)
	s_and_b32 s44, exec_lo, s46
	s_or_b32 s40, s44, s40
	s_and_not1_b32 s41, s41, exec_lo
	s_and_b32 s44, s42, exec_lo
	s_delay_alu instid0(SALU_CYCLE_1)
	s_or_b32 s41, s41, s44
	s_and_not1_b32 exec_lo, exec_lo, s40
	s_cbranch_execz .LBB16_503
.LBB16_499:                             ;   Parent Loop BB16_73 Depth=1
                                        ;     Parent Loop BB16_469 Depth=2
                                        ; =>    This Inner Loop Header: Depth=3
	s_add_co_i32 s43, s43, 1
	s_delay_alu instid0(SALU_CYCLE_1) | instskip(SKIP_1) | instid1(SALU_CYCLE_1)
	s_cmp_lg_u32 s43, 0x2710
	s_cselect_b32 s44, -1, 0
	s_and_b32 vcc_lo, exec_lo, s44
	s_cbranch_vccz .LBB16_501
; %bb.500:                              ;   in Loop: Header=BB16_499 Depth=3
	s_mov_b32 s46, -1
	s_or_b32 s42, s42, exec_lo
	s_and_saveexec_b32 s45, s44
	s_cbranch_execz .LBB16_498
	s_branch .LBB16_502
.LBB16_501:                             ;   in Loop: Header=BB16_499 Depth=3
	s_trap 2
	ds_load_b64 v[22:23], v0
	s_and_not1_b32 s44, s44, exec_lo
	s_mov_b32 s43, 0
	s_wait_loadcnt_dscnt 0x0
	flat_load_b32 v3, v[22:23] scope:SCOPE_SYS
	s_wait_loadcnt_dscnt 0x0
	global_inv scope:SCOPE_SYS
	v_cmp_eq_u32_e32 vcc_lo, 0, v3
	s_and_b32 s45, vcc_lo, exec_lo
	s_delay_alu instid0(SALU_CYCLE_1)
	s_or_b32 s44, s44, s45
	s_mov_b32 s46, -1
	s_or_b32 s42, s42, exec_lo
	s_and_saveexec_b32 s45, s44
	s_cbranch_execz .LBB16_498
.LBB16_502:                             ;   in Loop: Header=BB16_499 Depth=3
	s_sleep 1
	s_trap 2
	ds_load_b64 v[22:23], v0
	s_wait_dscnt 0x0
	s_and_not1_b32 s42, s42, exec_lo
	v_cmp_ge_u64_e32 vcc_lo, v[22:23], v[14:15]
	s_or_not1_b32 s46, vcc_lo, exec_lo
	s_branch .LBB16_498
.LBB16_503:                             ;   in Loop: Header=BB16_469 Depth=2
	s_or_b32 exec_lo, exec_lo, s40
	s_and_saveexec_b32 s40, s41
	s_delay_alu instid0(SALU_CYCLE_1)
	s_xor_b32 s40, exec_lo, s40
	s_cbranch_execz .LBB16_505
; %bb.504:                              ;   in Loop: Header=BB16_469 Depth=2
	ds_store_b32 v0, v58
	s_trap 2
.LBB16_505:                             ;   in Loop: Header=BB16_469 Depth=2
	s_or_b32 exec_lo, exec_lo, s29
	;;#ASMSTART
	s_wakeup
	;;#ASMEND
.LBB16_506:                             ;   in Loop: Header=BB16_469 Depth=2
	s_or_b32 exec_lo, exec_lo, s28
.LBB16_507:                             ;   in Loop: Header=BB16_469 Depth=2
	s_and_not1_saveexec_b32 s17, s17
	s_cbranch_execz .LBB16_509
; %bb.508:                              ;   in Loop: Header=BB16_469 Depth=2
	global_wb scope:SCOPE_DEV
	s_wait_storecnt 0x0
	s_wait_loadcnt_dscnt 0x0
	global_inv scope:SCOPE_DEV
	s_barrier_signal -1
	s_barrier_wait -1
.LBB16_509:                             ;   in Loop: Header=BB16_469 Depth=2
	s_or_b32 exec_lo, exec_lo, s17
.LBB16_510:                             ;   in Loop: Header=BB16_469 Depth=2
	s_delay_alu instid0(SALU_CYCLE_1) | instskip(SKIP_1) | instid1(SALU_CYCLE_1)
	s_or_b32 exec_lo, exec_lo, s13
                                        ; implicit-def: $vgpr3
	s_and_saveexec_b32 s13, s10
	s_xor_b32 s17, exec_lo, s13
	s_cbranch_execz .LBB16_514
; %bb.511:                              ;   in Loop: Header=BB16_469 Depth=2
	s_trap 2
	ds_load_b32 v3, v0
	v_cmp_lt_i32_e32 vcc_lo, 0, v4
	s_wait_dscnt 0x0
	v_readfirstlane_b32 s13, v3
	v_and_b32_e32 v3, 16, v30
	s_cmp_eq_u32 s13, 0
	s_delay_alu instid0(VALU_DEP_1) | instskip(SKIP_3) | instid1(SALU_CYCLE_1)
	v_cmp_ne_u32_e64 s13, 0, v3
	s_cselect_b32 s28, -1, 0
	v_and_b32_e32 v3, 16, v30
	s_and_b32 s28, vcc_lo, s28
	s_and_b32 s28, s13, s28
	s_delay_alu instid0(SALU_CYCLE_1)
	s_and_saveexec_b32 s13, s28
	s_cbranch_execz .LBB16_513
; %bb.512:                              ;   in Loop: Header=BB16_469 Depth=2
	v_mov_b32_e32 v3, 1
	global_wb scope:SCOPE_SYS
	s_wait_loadcnt 0x0
	s_wait_storecnt 0x0
	global_inv scope:SCOPE_SYS
.LBB16_513:                             ;   in Loop: Header=BB16_469 Depth=2
	s_or_b32 exec_lo, exec_lo, s13
	s_and_not1_saveexec_b32 s13, s17
	s_cbranch_execz .LBB16_533
	s_branch .LBB16_515
.LBB16_514:                             ;   in Loop: Header=BB16_469 Depth=2
	s_and_not1_saveexec_b32 s13, s17
	s_cbranch_execz .LBB16_533
.LBB16_515:                             ;   in Loop: Header=BB16_469 Depth=2
	s_and_saveexec_b32 s17, s2
	s_delay_alu instid0(SALU_CYCLE_1)
	s_xor_b32 s17, exec_lo, s17
	s_cbranch_execz .LBB16_530
; %bb.516:                              ;   in Loop: Header=BB16_469 Depth=2
	s_and_saveexec_b32 s28, s5
	s_cbranch_execz .LBB16_529
; %bb.517:                              ;   in Loop: Header=BB16_469 Depth=2
	s_mov_b32 s40, exec_lo
	s_mov_b32 s29, exec_lo
	v_mbcnt_lo_u32_b32 v3, s40, 0
	;;#ASMSTART
	s_waitcnt lgkmcnt(0) vmcnt(0)
	;;#ASMEND
	s_delay_alu instid0(VALU_DEP_1)
	v_cmpx_eq_u32_e32 0, v3
	s_cbranch_execz .LBB16_519
; %bb.518:                              ;   in Loop: Header=BB16_469 Depth=2
	s_bcnt1_i32_b32 s40, s40
	s_delay_alu instid0(SALU_CYCLE_1)
	v_mov_b32_e32 v48, s40
	s_wait_storecnt 0x0
	s_wait_loadcnt_dscnt 0x0
	ds_add_u64 v0, v[48:49]
	s_trap 2
.LBB16_519:                             ;   in Loop: Header=BB16_469 Depth=2
	s_or_b32 exec_lo, exec_lo, s29
	s_trap 2
	ds_load_b64 v[22:23], v0
	s_wait_dscnt 0x0
	v_add_nc_u64_e32 v[14:15], v[14:15], v[50:51]
	s_mov_b32 s29, exec_lo
	s_delay_alu instid0(VALU_DEP_1)
	v_cmpx_lt_u64_e64 v[22:23], v[14:15]
	s_cbranch_execz .LBB16_528
; %bb.520:                              ;   in Loop: Header=BB16_469 Depth=2
	s_mov_b32 s40, 0
	s_mov_b32 s43, 0
                                        ; implicit-def: $sgpr41
                                        ; implicit-def: $sgpr42
	s_branch .LBB16_522
.LBB16_521:                             ;   in Loop: Header=BB16_522 Depth=3
	s_or_b32 exec_lo, exec_lo, s45
	s_delay_alu instid0(SALU_CYCLE_1) | instskip(NEXT) | instid1(SALU_CYCLE_1)
	s_and_b32 s44, exec_lo, s46
	s_or_b32 s40, s44, s40
	s_and_not1_b32 s41, s41, exec_lo
	s_and_b32 s44, s42, exec_lo
	s_delay_alu instid0(SALU_CYCLE_1)
	s_or_b32 s41, s41, s44
	s_and_not1_b32 exec_lo, exec_lo, s40
	s_cbranch_execz .LBB16_526
.LBB16_522:                             ;   Parent Loop BB16_73 Depth=1
                                        ;     Parent Loop BB16_469 Depth=2
                                        ; =>    This Inner Loop Header: Depth=3
	s_add_co_i32 s43, s43, 1
	s_delay_alu instid0(SALU_CYCLE_1) | instskip(SKIP_1) | instid1(SALU_CYCLE_1)
	s_cmp_lg_u32 s43, 0x2710
	s_cselect_b32 s44, -1, 0
	s_and_b32 vcc_lo, exec_lo, s44
	s_cbranch_vccz .LBB16_524
; %bb.523:                              ;   in Loop: Header=BB16_522 Depth=3
	s_mov_b32 s46, -1
	s_or_b32 s42, s42, exec_lo
	s_and_saveexec_b32 s45, s44
	s_cbranch_execz .LBB16_521
	s_branch .LBB16_525
.LBB16_524:                             ;   in Loop: Header=BB16_522 Depth=3
	s_trap 2
	ds_load_b64 v[22:23], v0
	s_and_not1_b32 s44, s44, exec_lo
	s_mov_b32 s43, 0
	s_wait_storecnt 0x0
	s_wait_loadcnt_dscnt 0x0
	flat_load_b32 v3, v[22:23] scope:SCOPE_SYS
	s_wait_loadcnt_dscnt 0x0
	global_inv scope:SCOPE_SYS
	v_cmp_eq_u32_e32 vcc_lo, 0, v3
	s_and_b32 s45, vcc_lo, exec_lo
	s_delay_alu instid0(SALU_CYCLE_1)
	s_or_b32 s44, s44, s45
	s_mov_b32 s46, -1
	s_or_b32 s42, s42, exec_lo
	s_and_saveexec_b32 s45, s44
	s_cbranch_execz .LBB16_521
.LBB16_525:                             ;   in Loop: Header=BB16_522 Depth=3
	s_sleep 1
	s_trap 2
	ds_load_b64 v[22:23], v0
	s_wait_dscnt 0x0
	s_and_not1_b32 s42, s42, exec_lo
	v_cmp_ge_u64_e32 vcc_lo, v[22:23], v[14:15]
	s_or_not1_b32 s46, vcc_lo, exec_lo
	s_branch .LBB16_521
.LBB16_526:                             ;   in Loop: Header=BB16_469 Depth=2
	s_or_b32 exec_lo, exec_lo, s40
	s_and_saveexec_b32 s40, s41
	s_delay_alu instid0(SALU_CYCLE_1)
	s_xor_b32 s40, exec_lo, s40
	s_cbranch_execz .LBB16_528
; %bb.527:                              ;   in Loop: Header=BB16_469 Depth=2
	ds_store_b32 v0, v58
	s_trap 2
.LBB16_528:                             ;   in Loop: Header=BB16_469 Depth=2
	s_or_b32 exec_lo, exec_lo, s29
	;;#ASMSTART
	s_wakeup
	;;#ASMEND
.LBB16_529:                             ;   in Loop: Header=BB16_469 Depth=2
	s_or_b32 exec_lo, exec_lo, s28
.LBB16_530:                             ;   in Loop: Header=BB16_469 Depth=2
	s_and_not1_saveexec_b32 s17, s17
	s_cbranch_execz .LBB16_532
; %bb.531:                              ;   in Loop: Header=BB16_469 Depth=2
	;;#ASMSTART
	s_waitcnt lgkmcnt(0) vmcnt(0)
	;;#ASMEND
	s_barrier_signal -1
	s_barrier_wait -1
.LBB16_532:                             ;   in Loop: Header=BB16_469 Depth=2
	s_or_b32 exec_lo, exec_lo, s17
	v_and_b32_e32 v3, 16, v30
.LBB16_533:                             ;   in Loop: Header=BB16_469 Depth=2
	s_or_b32 exec_lo, exec_lo, s13
	s_delay_alu instid0(SALU_CYCLE_1) | instskip(NEXT) | instid1(VALU_DEP_1)
	s_mov_b32 s13, exec_lo
	v_cmpx_ne_u32_e32 0, v3
	s_cbranch_execz .LBB16_468
; %bb.534:                              ;   in Loop: Header=BB16_469 Depth=2
	s_and_saveexec_b32 s17, s4
	s_cbranch_execz .LBB16_467
; %bb.535:                              ;   in Loop: Header=BB16_469 Depth=2
	global_wb scope:SCOPE_SYS
	s_wait_storecnt 0x0
	s_wait_loadcnt_dscnt 0x0
	flat_store_b32 v[34:35], v58 scope:SCOPE_SYS
	s_branch .LBB16_467
.LBB16_536:                             ;   in Loop: Header=BB16_73 Depth=1
	s_or_b32 exec_lo, exec_lo, s15
.LBB16_537:                             ;   in Loop: Header=BB16_73 Depth=1
	s_delay_alu instid0(SALU_CYCLE_1)
	s_or_b32 exec_lo, exec_lo, s14
	s_and_not1_saveexec_b32 s14, s28
	s_cbranch_execnz .LBB16_251
.LBB16_538:                             ;   in Loop: Header=BB16_73 Depth=1
	s_or_b32 exec_lo, exec_lo, s14
	s_delay_alu instid0(SALU_CYCLE_1)
	s_and_not1_b32 vcc_lo, exec_lo, s24
	s_cbranch_vccz .LBB16_541
	s_branch .LBB16_801
.LBB16_539:                             ;   in Loop: Header=BB16_73 Depth=1
	s_or_b32 exec_lo, exec_lo, s16
.LBB16_540:                             ;   in Loop: Header=BB16_73 Depth=1
	s_delay_alu instid0(SALU_CYCLE_1) | instskip(NEXT) | instid1(SALU_CYCLE_1)
	s_or_b32 exec_lo, exec_lo, s15
	s_or_b32 exec_lo, exec_lo, s14
	s_delay_alu instid0(SALU_CYCLE_1)
	s_and_not1_b32 vcc_lo, exec_lo, s24
	s_cbranch_vccnz .LBB16_801
.LBB16_541:                             ;   in Loop: Header=BB16_73 Depth=1
	s_mov_b32 s28, 1
.LBB16_542:                             ;   Parent Loop BB16_73 Depth=1
                                        ; =>  This Loop Header: Depth=2
                                        ;       Child Loop BB16_545 Depth 3
                                        ;         Child Loop BB16_553 Depth 4
                                        ;         Child Loop BB16_581 Depth 4
	;; [unrolled: 1-line block ×5, first 2 shown]
                                        ;           Child Loop BB16_633 Depth 5
                                        ;         Child Loop BB16_642 Depth 4
                                        ;         Child Loop BB16_647 Depth 4
                                        ;           Child Loop BB16_648 Depth 5
                                        ;         Child Loop BB16_660 Depth 4
                                        ;         Child Loop BB16_665 Depth 4
	;; [unrolled: 1-line block ×6, first 2 shown]
                                        ;       Child Loop BB16_726 Depth 3
                                        ;         Child Loop BB16_732 Depth 4
                                        ;         Child Loop BB16_760 Depth 4
	;; [unrolled: 1-line block ×3, first 2 shown]
	v_dual_mov_b32 v2, 0 :: v_dual_mov_b32 v112, v72
	v_mov_b32_e32 v102, 0
	s_and_saveexec_b32 s29, s12
	s_cbranch_execz .LBB16_723
; %bb.543:                              ;   in Loop: Header=BB16_542 Depth=2
	s_sub_co_i32 s13, s18, s28
	v_readfirstlane_b32 s14, v18
	v_dual_mov_b32 v2, s13 :: v_dual_mov_b32 v102, 0
	v_readfirstlane_b32 s15, v19
	s_mov_b32 s42, 1
	s_mov_b32 s41, -1
	s_mov_b32 s40, 0
	v_mov_b32_e32 v112, v72
	flat_load_b32 v2, v2, s[14:15] scale_offset
	s_wait_loadcnt_dscnt 0x0
	v_mad_nc_u64_u32 v[114:115], v20, v2, v[100:101]
	s_delay_alu instid0(VALU_DEP_1) | instskip(SKIP_2) | instid1(VALU_DEP_1)
	v_mad_u32 v3, v21, v2, v115
	s_wait_xcnt 0x0
	v_ashrrev_i32_e32 v2, 31, v2
	v_mad_u32 v115, v20, v2, v3
	s_branch .LBB16_545
.LBB16_544:                             ;   in Loop: Header=BB16_545 Depth=3
	s_wait_xcnt 0x0
	s_or_b32 exec_lo, exec_lo, s13
	v_dual_add_nc_u32 v102, v112, v102 :: v_dual_mov_b32 v2, s42
	s_xor_b32 s13, s41, -1
	s_mov_b32 s41, 0
	s_mov_b32 s42, 2
	s_delay_alu instid0(VALU_DEP_1) | instskip(SKIP_1) | instid1(SALU_CYCLE_1)
	v_cmp_ge_i32_e32 vcc_lo, v102, v63
	s_or_b32 s13, s13, vcc_lo
	s_and_b32 s13, exec_lo, s13
	s_delay_alu instid0(SALU_CYCLE_1) | instskip(NEXT) | instid1(SALU_CYCLE_1)
	s_or_b32 s40, s13, s40
	s_and_not1_b32 exec_lo, exec_lo, s40
	s_cbranch_execz .LBB16_722
.LBB16_545:                             ;   Parent Loop BB16_73 Depth=1
                                        ;     Parent Loop BB16_542 Depth=2
                                        ; =>    This Loop Header: Depth=3
                                        ;         Child Loop BB16_553 Depth 4
                                        ;         Child Loop BB16_581 Depth 4
	;; [unrolled: 1-line block ×5, first 2 shown]
                                        ;           Child Loop BB16_633 Depth 5
                                        ;         Child Loop BB16_642 Depth 4
                                        ;         Child Loop BB16_647 Depth 4
                                        ;           Child Loop BB16_648 Depth 5
                                        ;         Child Loop BB16_660 Depth 4
                                        ;         Child Loop BB16_665 Depth 4
	;; [unrolled: 1-line block ×6, first 2 shown]
	s_and_saveexec_b32 s13, s0
	s_cbranch_execz .LBB16_547
; %bb.546:                              ;   in Loop: Header=BB16_545 Depth=3
	s_trap 2
	ds_load_b128 v[2:5], v0
	s_wait_dscnt 0x0
	v_add_nc_u64_e32 v[22:23], v[4:5], v[114:115]
	v_cmp_ne_u64_e32 vcc_lo, 0, v[4:5]
	v_ashrrev_i32_e32 v103, 31, v102
	v_add_nc_u64_e32 v[2:3], v[2:3], v[114:115]
	s_delay_alu instid0(VALU_DEP_2) | instskip(NEXT) | instid1(VALU_DEP_1)
	v_add_nc_u64_e32 v[22:23], v[22:23], v[102:103]
	v_cndmask_b32_e32 v5, 0, v23, vcc_lo
	s_delay_alu instid0(VALU_DEP_3) | instskip(NEXT) | instid1(VALU_DEP_3)
	v_add_nc_u64_e32 v[2:3], v[2:3], v[102:103]
	v_cndmask_b32_e32 v4, 0, v22, vcc_lo
	ds_store_b64 v0, v[2:3]
	ds_store_b64 v0, v[4:5]
.LBB16_547:                             ;   in Loop: Header=BB16_545 Depth=3
	s_or_b32 exec_lo, exec_lo, s13
	v_sub_nc_u32_e32 v2, v63, v102
	v_and_b32_e32 v3, 12, v30
	s_mov_b32 s14, exec_lo
	s_delay_alu instid0(VALU_DEP_2) | instskip(NEXT) | instid1(VALU_DEP_2)
	v_min_i32_e32 v112, v112, v2
	v_cmpx_ne_u32_e32 0, v3
	s_cbranch_execz .LBB16_573
; %bb.548:                              ;   in Loop: Header=BB16_545 Depth=3
	v_and_b32_e32 v48, 8, v30
	v_add_nc_u64_e32 v[2:3], 2, v[98:99]
	s_mov_b32 s15, exec_lo
	s_wait_loadcnt 0x0
	s_delay_alu instid0(VALU_DEP_2) | instskip(NEXT) | instid1(VALU_DEP_1)
	v_add_nc_u64_e32 v[4:5], v[36:37], v[48:49]
	v_cmpx_lt_u64_e64 v[4:5], v[2:3]
	s_cbranch_execz .LBB16_560
; %bb.549:                              ;   in Loop: Header=BB16_545 Depth=3
	v_and_b32_e32 v4, 64, v30
	s_mov_b32 s16, 0
	s_mov_b32 s45, 0
                                        ; implicit-def: $sgpr17
                                        ; implicit-def: $sgpr43
                                        ; implicit-def: $sgpr44
	s_delay_alu instid0(VALU_DEP_1)
	v_cmp_eq_u32_e32 vcc_lo, 0, v4
	s_branch .LBB16_553
.LBB16_550:                             ;   in Loop: Header=BB16_553 Depth=4
	s_wait_loadcnt_dscnt 0x0
	v_add_nc_u64_e32 v[22:23], v[36:37], v[48:49]
	s_or_b32 s56, s56, exec_lo
	s_delay_alu instid0(VALU_DEP_1)
	v_cmp_ge_u64_e64 s13, v[22:23], v[2:3]
	s_or_not1_b32 s47, s13, exec_lo
.LBB16_551:                             ;   in Loop: Header=BB16_553 Depth=4
	s_or_b32 exec_lo, exec_lo, s58
	s_delay_alu instid0(SALU_CYCLE_1)
	s_and_not1_b32 s13, s44, exec_lo
	s_and_b32 s44, s56, exec_lo
	s_and_not1_b32 s43, s43, exec_lo
	s_and_b32 s47, s47, exec_lo
	s_or_b32 s44, s13, s44
	s_or_b32 s43, s43, s47
.LBB16_552:                             ;   in Loop: Header=BB16_553 Depth=4
	s_or_b32 exec_lo, exec_lo, s46
	s_delay_alu instid0(SALU_CYCLE_1) | instskip(NEXT) | instid1(SALU_CYCLE_1)
	s_and_b32 s13, exec_lo, s43
	s_or_b32 s16, s13, s16
	s_and_not1_b32 s13, s17, exec_lo
	s_and_b32 s17, s44, exec_lo
	s_delay_alu instid0(SALU_CYCLE_1)
	s_or_b32 s17, s13, s17
	s_and_not1_b32 exec_lo, exec_lo, s16
	s_cbranch_execz .LBB16_557
.LBB16_553:                             ;   Parent Loop BB16_73 Depth=1
                                        ;     Parent Loop BB16_542 Depth=2
                                        ;       Parent Loop BB16_545 Depth=3
                                        ; =>      This Inner Loop Header: Depth=4
	s_sleep 1
	s_wait_loadcnt_dscnt 0x0
	flat_load_b64 v[36:37], v[26:27] scope:SCOPE_SYS
	s_or_b32 s44, s44, exec_lo
	s_or_b32 s43, s43, exec_lo
                                        ; implicit-def: $vgpr4
	s_wait_xcnt 0x0
	s_and_saveexec_b32 s46, vcc_lo
	s_cbranch_execz .LBB16_552
; %bb.554:                              ;   in Loop: Header=BB16_553 Depth=4
	s_cmp_lt_i32 s45, 0x270f
	s_mov_b32 s47, -1
	s_cselect_b32 s57, -1, 0
	s_cmp_gt_i32 s45, 0x270e
	s_cbranch_scc0 .LBB16_556
; %bb.555:                              ;   in Loop: Header=BB16_553 Depth=4
	s_trap 2
	ds_load_b64 v[4:5], v0
	s_and_not1_b32 s45, s57, exec_lo
	s_mov_b32 s56, 0
	s_wait_storecnt 0x0
	s_wait_loadcnt_dscnt 0x0
	flat_load_b32 v4, v[4:5] scope:SCOPE_SYS
	s_wait_loadcnt_dscnt 0x0
	global_inv scope:SCOPE_SYS
	v_cmp_eq_u32_e64 s13, 0, v4
	s_and_b32 s13, s13, exec_lo
	s_delay_alu instid0(SALU_CYCLE_1)
	s_or_b32 s57, s45, s13
	s_mov_b32 s45, 0
	s_and_saveexec_b32 s58, s57
	s_cbranch_execz .LBB16_551
	s_branch .LBB16_550
.LBB16_556:                             ;   in Loop: Header=BB16_553 Depth=4
	s_add_co_i32 s45, s45, 1
	s_mov_b32 s56, -1
                                        ; implicit-def: $vgpr4
	s_and_saveexec_b32 s58, s57
	s_cbranch_execz .LBB16_551
	s_branch .LBB16_550
.LBB16_557:                             ;   in Loop: Header=BB16_545 Depth=3
	s_or_b32 exec_lo, exec_lo, s16
	s_xor_b32 s13, s17, -1
	s_delay_alu instid0(SALU_CYCLE_1) | instskip(NEXT) | instid1(SALU_CYCLE_1)
	s_and_saveexec_b32 s16, s13
	s_xor_b32 s13, exec_lo, s16
	s_cbranch_execz .LBB16_559
; %bb.558:                              ;   in Loop: Header=BB16_545 Depth=3
	v_or_b32_e32 v30, 64, v30
	s_wait_storecnt 0x0
	s_wait_loadcnt_dscnt 0x0
	ds_store_b32 v0, v4
	s_trap 2
.LBB16_559:                             ;   in Loop: Header=BB16_545 Depth=3
	s_or_b32 exec_lo, exec_lo, s13
.LBB16_560:                             ;   in Loop: Header=BB16_545 Depth=3
	s_delay_alu instid0(SALU_CYCLE_1) | instskip(SKIP_2) | instid1(VALU_DEP_1)
	s_or_b32 exec_lo, exec_lo, s15
	v_and_b32_e32 v4, 0x108, v30
	;;#ASMSTART
	s_wakeup
	;;#ASMEND
	v_cmp_ne_u32_e32 vcc_lo, 0x108, v4
                                        ; implicit-def: $vgpr4_vgpr5
	s_and_saveexec_b32 s13, vcc_lo
	s_delay_alu instid0(SALU_CYCLE_1)
	s_xor_b32 s13, exec_lo, s13
; %bb.561:                              ;   in Loop: Header=BB16_545 Depth=3
	v_dual_mov_b32 v5, v49 :: v_dual_bitop2_b32 v4, 7, v98 bitop3:0x40
                                        ; implicit-def: $vgpr98_vgpr99
; %bb.562:                              ;   in Loop: Header=BB16_545 Depth=3
	s_and_not1_saveexec_b32 s13, s13
	s_cbranch_execz .LBB16_564
; %bb.563:                              ;   in Loop: Header=BB16_545 Depth=3
	v_dual_ashrrev_i32 v113, 31, v112 :: v_dual_bitop2_b32 v4, 7, v98 bitop3:0x40
	v_mov_b32_e32 v5, v49
	s_delay_alu instid0(VALU_DEP_2)
	v_mad_nc_u64_u32 v[22:23], v4, 24, v[12:13]
	flat_store_b64 v[22:23], v[112:113] offset:8
.LBB16_564:                             ;   in Loop: Header=BB16_545 Depth=3
	s_wait_xcnt 0x0
	s_or_b32 exec_lo, exec_lo, s13
	v_and_b32_e32 v22, 0x100, v30
	s_mov_b32 s13, -1
	s_mov_b32 s15, exec_lo
                                        ; implicit-def: $vgpr98_vgpr99
	s_delay_alu instid0(VALU_DEP_1)
	v_cmpx_ne_u32_e32 0, v22
	s_cbranch_execz .LBB16_568
; %bb.565:                              ;   in Loop: Header=BB16_545 Depth=3
	v_mad_nc_u64_u32 v[116:117], v4, 24, v[12:13]
	s_mov_b32 s16, exec_lo
                                        ; implicit-def: $vgpr98_vgpr99
	s_delay_alu instid0(VALU_DEP_1)
	v_mad_u32 v117, v5, 24, v117
	flat_load_b32 v22, v[116:117]
	s_wait_loadcnt_dscnt 0x0
	v_cmp_ne_u32_e32 vcc_lo, 1, v22
	s_wait_xcnt 0x0
	v_cmpx_eq_u32_e32 1, v22
	s_cbranch_execz .LBB16_567
; %bb.566:                              ;   in Loop: Header=BB16_545 Depth=3
	flat_load_b32 v98, v[116:117] offset:4 scope:SCOPE_SYS
	s_wait_loadcnt_dscnt 0x0
	v_ashrrev_i32_e32 v99, 31, v98
.LBB16_567:                             ;   in Loop: Header=BB16_545 Depth=3
	s_wait_xcnt 0x0
	s_or_b32 exec_lo, exec_lo, s16
	s_delay_alu instid0(SALU_CYCLE_1)
	s_or_not1_b32 s13, vcc_lo, exec_lo
.LBB16_568:                             ;   in Loop: Header=BB16_545 Depth=3
	s_or_b32 exec_lo, exec_lo, s15
	s_and_saveexec_b32 s15, s13
; %bb.569:                              ;   in Loop: Header=BB16_545 Depth=3
	v_mul_u64_e32 v[98:99], v[4:5], v[28:29]
; %bb.570:                              ;   in Loop: Header=BB16_545 Depth=3
	s_or_b32 exec_lo, exec_lo, s15
	v_cmp_eq_u32_e32 vcc_lo, 0, v48
	s_delay_alu instid0(VALU_DEP_2) | instskip(SKIP_3) | instid1(VALU_DEP_1)
	v_add_nc_u64_e32 v[4:5], v[32:33], v[98:99]
	v_and_b32_e32 v23, 0x2000, v30
	s_mov_b32 s13, exec_lo
	v_cndmask_b32_e32 v22, 0xd0, v59, vcc_lo
	v_add_nc_u32_e32 v22, v0, v22
	ds_store_b64 v22, v[4:5] offset:584
	v_cmpx_ne_u32_e32 0, v23
	s_cbranch_execz .LBB16_572
; %bb.571:                              ;   in Loop: Header=BB16_545 Depth=3
	ds_load_b64 v[4:5], v0 offset:872
	s_wait_dscnt 0x0
	v_add_nc_u64_e32 v[4:5], 1, v[4:5]
	ds_store_b64 v0, v[4:5] offset:872
.LBB16_572:                             ;   in Loop: Header=BB16_545 Depth=3
	s_or_b32 exec_lo, exec_lo, s13
	v_mov_b64_e32 v[98:99], v[2:3]
.LBB16_573:                             ;   in Loop: Header=BB16_545 Depth=3
	s_or_b32 exec_lo, exec_lo, s14
	s_and_saveexec_b32 s13, s1
	s_cbranch_execz .LBB16_592
; %bb.574:                              ;   in Loop: Header=BB16_545 Depth=3
	s_and_saveexec_b32 s14, s2
	s_delay_alu instid0(SALU_CYCLE_1)
	s_xor_b32 s14, exec_lo, s14
	s_cbranch_execz .LBB16_589
; %bb.575:                              ;   in Loop: Header=BB16_545 Depth=3
	s_and_saveexec_b32 s15, s5
	s_cbranch_execz .LBB16_588
; %bb.576:                              ;   in Loop: Header=BB16_545 Depth=3
	s_mov_b32 s17, exec_lo
	s_mov_b32 s16, exec_lo
	v_mbcnt_lo_u32_b32 v2, s17, 0
	global_wb scope:SCOPE_DEV
	s_wait_storecnt 0x0
	s_wait_loadcnt_dscnt 0x0
	global_inv scope:SCOPE_DEV
	v_cmpx_eq_u32_e32 0, v2
	s_cbranch_execz .LBB16_578
; %bb.577:                              ;   in Loop: Header=BB16_545 Depth=3
	s_bcnt1_i32_b32 s17, s17
	s_delay_alu instid0(SALU_CYCLE_1)
	v_mov_b32_e32 v48, s17
	s_wait_loadcnt 0x0
	ds_add_u64 v0, v[48:49]
	s_trap 2
.LBB16_578:                             ;   in Loop: Header=BB16_545 Depth=3
	s_or_b32 exec_lo, exec_lo, s16
	s_trap 2
	ds_load_b64 v[2:3], v0
	s_wait_dscnt 0x0
	v_add_nc_u64_e32 v[14:15], v[14:15], v[50:51]
	s_mov_b32 s16, exec_lo
	s_delay_alu instid0(VALU_DEP_1)
	v_cmpx_lt_u64_e64 v[2:3], v[14:15]
	s_cbranch_execz .LBB16_587
; %bb.579:                              ;   in Loop: Header=BB16_545 Depth=3
	s_mov_b32 s17, 0
	s_mov_b32 s45, 0
                                        ; implicit-def: $sgpr43
                                        ; implicit-def: $sgpr44
	s_branch .LBB16_581
.LBB16_580:                             ;   in Loop: Header=BB16_581 Depth=4
	s_or_b32 exec_lo, exec_lo, s47
	s_delay_alu instid0(SALU_CYCLE_1) | instskip(NEXT) | instid1(SALU_CYCLE_1)
	s_and_b32 s46, exec_lo, s56
	s_or_b32 s17, s46, s17
	s_and_not1_b32 s43, s43, exec_lo
	s_and_b32 s46, s44, exec_lo
	s_delay_alu instid0(SALU_CYCLE_1)
	s_or_b32 s43, s43, s46
	s_and_not1_b32 exec_lo, exec_lo, s17
	s_cbranch_execz .LBB16_585
.LBB16_581:                             ;   Parent Loop BB16_73 Depth=1
                                        ;     Parent Loop BB16_542 Depth=2
                                        ;       Parent Loop BB16_545 Depth=3
                                        ; =>      This Inner Loop Header: Depth=4
	s_add_co_i32 s45, s45, 1
	s_delay_alu instid0(SALU_CYCLE_1) | instskip(SKIP_1) | instid1(SALU_CYCLE_1)
	s_cmp_lg_u32 s45, 0x2710
	s_cselect_b32 s46, -1, 0
	s_and_b32 vcc_lo, exec_lo, s46
	s_cbranch_vccz .LBB16_583
; %bb.582:                              ;   in Loop: Header=BB16_581 Depth=4
	s_mov_b32 s56, -1
	s_or_b32 s44, s44, exec_lo
	s_and_saveexec_b32 s47, s46
	s_cbranch_execz .LBB16_580
	s_branch .LBB16_584
.LBB16_583:                             ;   in Loop: Header=BB16_581 Depth=4
	s_trap 2
	ds_load_b64 v[2:3], v0
	s_and_not1_b32 s46, s46, exec_lo
	s_mov_b32 s45, 0
	s_wait_loadcnt_dscnt 0x0
	flat_load_b32 v2, v[2:3] scope:SCOPE_SYS
	s_wait_loadcnt_dscnt 0x0
	global_inv scope:SCOPE_SYS
	v_cmp_eq_u32_e32 vcc_lo, 0, v2
	s_and_b32 s47, vcc_lo, exec_lo
	s_delay_alu instid0(SALU_CYCLE_1)
	s_or_b32 s46, s46, s47
	s_mov_b32 s56, -1
	s_or_b32 s44, s44, exec_lo
	s_and_saveexec_b32 s47, s46
	s_cbranch_execz .LBB16_580
.LBB16_584:                             ;   in Loop: Header=BB16_581 Depth=4
	s_sleep 1
	s_trap 2
	ds_load_b64 v[2:3], v0
	s_wait_dscnt 0x0
	s_and_not1_b32 s44, s44, exec_lo
	v_cmp_ge_u64_e32 vcc_lo, v[2:3], v[14:15]
	s_or_not1_b32 s56, vcc_lo, exec_lo
	s_branch .LBB16_580
.LBB16_585:                             ;   in Loop: Header=BB16_545 Depth=3
	s_or_b32 exec_lo, exec_lo, s17
	s_and_saveexec_b32 s17, s43
	s_delay_alu instid0(SALU_CYCLE_1)
	s_xor_b32 s17, exec_lo, s17
	s_cbranch_execz .LBB16_587
; %bb.586:                              ;   in Loop: Header=BB16_545 Depth=3
	ds_store_b32 v0, v58
	s_trap 2
.LBB16_587:                             ;   in Loop: Header=BB16_545 Depth=3
	s_or_b32 exec_lo, exec_lo, s16
	;;#ASMSTART
	s_wakeup
	;;#ASMEND
.LBB16_588:                             ;   in Loop: Header=BB16_545 Depth=3
	s_or_b32 exec_lo, exec_lo, s15
.LBB16_589:                             ;   in Loop: Header=BB16_545 Depth=3
	s_and_not1_saveexec_b32 s14, s14
	s_cbranch_execz .LBB16_591
; %bb.590:                              ;   in Loop: Header=BB16_545 Depth=3
	global_wb scope:SCOPE_DEV
	s_wait_storecnt 0x0
	s_wait_loadcnt_dscnt 0x0
	global_inv scope:SCOPE_DEV
	s_barrier_signal -1
	s_barrier_wait -1
.LBB16_591:                             ;   in Loop: Header=BB16_545 Depth=3
	s_or_b32 exec_lo, exec_lo, s14
.LBB16_592:                             ;   in Loop: Header=BB16_545 Depth=3
	s_delay_alu instid0(SALU_CYCLE_1) | instskip(SKIP_3) | instid1(VALU_DEP_1)
	s_or_b32 exec_lo, exec_lo, s13
	s_trap 2
	ds_load_b32 v2, v0
	v_and_b32_e32 v3, 0x4000, v30
	v_cmp_ne_u32_e32 vcc_lo, 0, v3
	s_and_b32 s14, s27, vcc_lo
	s_delay_alu instid0(SALU_CYCLE_1)
	s_and_saveexec_b32 s13, s14
	s_cbranch_execz .LBB16_611
; %bb.593:                              ;   in Loop: Header=BB16_545 Depth=3
	s_and_saveexec_b32 s14, s2
	s_delay_alu instid0(SALU_CYCLE_1)
	s_xor_b32 s14, exec_lo, s14
	s_cbranch_execz .LBB16_608
; %bb.594:                              ;   in Loop: Header=BB16_545 Depth=3
	s_and_saveexec_b32 s15, s5
	s_cbranch_execz .LBB16_607
; %bb.595:                              ;   in Loop: Header=BB16_545 Depth=3
	s_mov_b32 s17, exec_lo
	s_mov_b32 s16, exec_lo
	v_mbcnt_lo_u32_b32 v3, s17, 0
	global_wb scope:SCOPE_DEV
	s_wait_storecnt 0x0
	s_wait_loadcnt_dscnt 0x0
	global_inv scope:SCOPE_DEV
	v_cmpx_eq_u32_e32 0, v3
	s_cbranch_execz .LBB16_597
; %bb.596:                              ;   in Loop: Header=BB16_545 Depth=3
	s_bcnt1_i32_b32 s17, s17
	s_delay_alu instid0(SALU_CYCLE_1)
	v_mov_b32_e32 v48, s17
	s_wait_loadcnt 0x0
	ds_add_u64 v0, v[48:49]
	s_trap 2
.LBB16_597:                             ;   in Loop: Header=BB16_545 Depth=3
	s_or_b32 exec_lo, exec_lo, s16
	s_trap 2
	ds_load_b64 v[4:5], v0
	s_wait_dscnt 0x0
	v_add_nc_u64_e32 v[14:15], v[14:15], v[50:51]
	s_mov_b32 s16, exec_lo
	s_delay_alu instid0(VALU_DEP_1)
	v_cmpx_lt_u64_e64 v[4:5], v[14:15]
	s_cbranch_execz .LBB16_606
; %bb.598:                              ;   in Loop: Header=BB16_545 Depth=3
	s_mov_b32 s17, 0
	s_mov_b32 s45, 0
                                        ; implicit-def: $sgpr43
                                        ; implicit-def: $sgpr44
	s_branch .LBB16_600
.LBB16_599:                             ;   in Loop: Header=BB16_600 Depth=4
	s_or_b32 exec_lo, exec_lo, s47
	s_delay_alu instid0(SALU_CYCLE_1) | instskip(NEXT) | instid1(SALU_CYCLE_1)
	s_and_b32 s46, exec_lo, s56
	s_or_b32 s17, s46, s17
	s_and_not1_b32 s43, s43, exec_lo
	s_and_b32 s46, s44, exec_lo
	s_delay_alu instid0(SALU_CYCLE_1)
	s_or_b32 s43, s43, s46
	s_and_not1_b32 exec_lo, exec_lo, s17
	s_cbranch_execz .LBB16_604
.LBB16_600:                             ;   Parent Loop BB16_73 Depth=1
                                        ;     Parent Loop BB16_542 Depth=2
                                        ;       Parent Loop BB16_545 Depth=3
                                        ; =>      This Inner Loop Header: Depth=4
	s_add_co_i32 s45, s45, 1
	s_delay_alu instid0(SALU_CYCLE_1) | instskip(SKIP_1) | instid1(SALU_CYCLE_1)
	s_cmp_lg_u32 s45, 0x2710
	s_cselect_b32 s46, -1, 0
	s_and_b32 vcc_lo, exec_lo, s46
	s_cbranch_vccz .LBB16_602
; %bb.601:                              ;   in Loop: Header=BB16_600 Depth=4
	s_mov_b32 s56, -1
	s_or_b32 s44, s44, exec_lo
	s_and_saveexec_b32 s47, s46
	s_cbranch_execz .LBB16_599
	s_branch .LBB16_603
.LBB16_602:                             ;   in Loop: Header=BB16_600 Depth=4
	s_trap 2
	ds_load_b64 v[4:5], v0
	s_and_not1_b32 s46, s46, exec_lo
	s_mov_b32 s45, 0
	s_wait_loadcnt_dscnt 0x0
	flat_load_b32 v3, v[4:5] scope:SCOPE_SYS
	s_wait_loadcnt_dscnt 0x0
	global_inv scope:SCOPE_SYS
	v_cmp_eq_u32_e32 vcc_lo, 0, v3
	s_and_b32 s47, vcc_lo, exec_lo
	s_delay_alu instid0(SALU_CYCLE_1)
	s_or_b32 s46, s46, s47
	s_mov_b32 s56, -1
	s_or_b32 s44, s44, exec_lo
	s_and_saveexec_b32 s47, s46
	s_cbranch_execz .LBB16_599
.LBB16_603:                             ;   in Loop: Header=BB16_600 Depth=4
	s_sleep 1
	s_trap 2
	ds_load_b64 v[4:5], v0
	s_wait_dscnt 0x0
	s_and_not1_b32 s44, s44, exec_lo
	v_cmp_ge_u64_e32 vcc_lo, v[4:5], v[14:15]
	s_or_not1_b32 s56, vcc_lo, exec_lo
	s_branch .LBB16_599
.LBB16_604:                             ;   in Loop: Header=BB16_545 Depth=3
	s_or_b32 exec_lo, exec_lo, s17
	s_and_saveexec_b32 s17, s43
	s_delay_alu instid0(SALU_CYCLE_1)
	s_xor_b32 s17, exec_lo, s17
	s_cbranch_execz .LBB16_606
; %bb.605:                              ;   in Loop: Header=BB16_545 Depth=3
	ds_store_b32 v0, v58
	s_trap 2
.LBB16_606:                             ;   in Loop: Header=BB16_545 Depth=3
	s_or_b32 exec_lo, exec_lo, s16
	;;#ASMSTART
	s_wakeup
	;;#ASMEND
.LBB16_607:                             ;   in Loop: Header=BB16_545 Depth=3
	s_or_b32 exec_lo, exec_lo, s15
.LBB16_608:                             ;   in Loop: Header=BB16_545 Depth=3
	s_and_not1_saveexec_b32 s14, s14
	s_cbranch_execz .LBB16_610
; %bb.609:                              ;   in Loop: Header=BB16_545 Depth=3
	global_wb scope:SCOPE_DEV
	s_wait_storecnt 0x0
	s_wait_loadcnt_dscnt 0x0
	global_inv scope:SCOPE_DEV
	s_barrier_signal -1
	s_barrier_wait -1
.LBB16_610:                             ;   in Loop: Header=BB16_545 Depth=3
	s_or_b32 exec_lo, exec_lo, s14
.LBB16_611:                             ;   in Loop: Header=BB16_545 Depth=3
	s_delay_alu instid0(SALU_CYCLE_1)
	s_or_b32 exec_lo, exec_lo, s13
	s_trap 2
	ds_load_b64 v[116:117], v0
	s_wait_dscnt 0x0
	v_cmp_eq_u64_e32 vcc_lo, 0, v[116:117]
	s_cbranch_vccnz .LBB16_620
; %bb.612:                              ;   in Loop: Header=BB16_545 Depth=3
	s_trap 2
	ds_load_b64 v[118:119], v0
	s_wait_dscnt 0x0
	v_cmp_eq_u64_e32 vcc_lo, 0, v[118:119]
	s_cbranch_vccnz .LBB16_620
; %bb.613:                              ;   in Loop: Header=BB16_545 Depth=3
	s_trap 2
	ds_load_b64 v[40:41], v0
	v_cmp_eq_u32_e64 s13, 0, v2
	s_delay_alu instid0(VALU_DEP_1)
	v_cndmask_b32_e64 v48, 0, v112, s13
	s_mov_b32 s13, -1
	s_wait_dscnt 0x0
	v_cmp_ne_u64_e32 vcc_lo, 0, v[40:41]
	s_cbranch_vccz .LBB16_651
; %bb.614:                              ;   in Loop: Header=BB16_545 Depth=3
	s_and_saveexec_b32 s14, s11
	s_cbranch_execz .LBB16_616
; %bb.615:                              ;   in Loop: Header=BB16_545 Depth=3
	ds_load_b32 v2, v0 offset:720
	s_wait_dscnt 0x0
	v_and_b32_e32 v2, 15, v2
	s_delay_alu instid0(VALU_DEP_1)
	v_cmp_eq_u32_e32 vcc_lo, 0, v2
	s_or_not1_b32 s13, vcc_lo, exec_lo
.LBB16_616:                             ;   in Loop: Header=BB16_545 Depth=3
	s_or_b32 exec_lo, exec_lo, s14
	s_and_saveexec_b32 s14, s7
	s_cbranch_execz .LBB16_618
; %bb.617:                              ;   in Loop: Header=BB16_545 Depth=3
	ds_load_b32 v2, v0 offset:784
	s_wait_dscnt 0x0
	v_and_b32_e32 v2, 15, v2
	s_delay_alu instid0(VALU_DEP_1) | instskip(SKIP_3) | instid1(SALU_CYCLE_1)
	v_cmp_eq_u32_e32 vcc_lo, 0, v2
	s_and_b32 s15, s13, vcc_lo
	s_and_not1_b32 s13, s13, exec_lo
	s_and_b32 s15, s15, exec_lo
	s_or_b32 s13, s13, s15
.LBB16_618:                             ;   in Loop: Header=BB16_545 Depth=3
	s_or_b32 exec_lo, exec_lo, s14
	s_xor_b32 s13, s13, -1
	v_dual_mov_b32 v103, 0 :: v_dual_mov_b32 v113, v48
	v_cndmask_b32_e64 v2, 0, 1, s13
	v_mov_b32_e32 v42, v0
	s_mov_b32 s13, -1
	s_delay_alu instid0(VALU_DEP_2)
	v_cmp_ne_u32_e32 vcc_lo, 0, v2
	v_mov_b32_e32 v2, v61
	s_cbranch_vccz .LBB16_625
; %bb.619:                              ;   in Loop: Header=BB16_545 Depth=3
	s_and_saveexec_b32 s15, s13
	s_cbranch_execnz .LBB16_640
	s_branch .LBB16_650
.LBB16_620:                             ;   in Loop: Header=BB16_545 Depth=3
	s_mov_b32 s13, 0
	s_and_saveexec_b32 s14, s1
	s_cbranch_execnz .LBB16_681
.LBB16_621:                             ;   in Loop: Header=BB16_545 Depth=3
	s_or_b32 exec_lo, exec_lo, s14
                                        ; implicit-def: $vgpr2
	s_and_saveexec_b32 s14, s10
	s_delay_alu instid0(SALU_CYCLE_1)
	s_xor_b32 s14, exec_lo, s14
	s_cbranch_execz .LBB16_699
.LBB16_622:                             ;   in Loop: Header=BB16_545 Depth=3
	v_and_b32_e32 v2, 16, v30
	s_delay_alu instid0(VALU_DEP_1) | instskip(SKIP_2) | instid1(SALU_CYCLE_1)
	v_cmp_ne_u32_e32 vcc_lo, 0, v2
	v_and_b32_e32 v2, 16, v30
	s_and_b32 s15, vcc_lo, s13
	s_and_saveexec_b32 s13, s15
	s_cbranch_execz .LBB16_624
; %bb.623:                              ;   in Loop: Header=BB16_545 Depth=3
	v_mov_b32_e32 v2, 1
	global_wb scope:SCOPE_SYS
	s_wait_storecnt 0x0
	s_wait_loadcnt_dscnt 0x0
	global_inv scope:SCOPE_SYS
.LBB16_624:                             ;   in Loop: Header=BB16_545 Depth=3
	s_or_b32 exec_lo, exec_lo, s13
	s_and_not1_saveexec_b32 s13, s14
	s_cbranch_execz .LBB16_718
	s_branch .LBB16_700
.LBB16_625:                             ;   in Loop: Header=BB16_545 Depth=3
	v_ashrrev_i32_e32 v2, 31, v48
	s_mov_b32 s13, exec_lo
	s_delay_alu instid0(VALU_DEP_1) | instskip(NEXT) | instid1(VALU_DEP_1)
	v_lshrrev_b32_e32 v2, 21, v2
	v_add_nc_u32_e32 v2, v48, v2
	s_delay_alu instid0(VALU_DEP_1) | instskip(NEXT) | instid1(VALU_DEP_1)
	v_ashrrev_i32_e32 v103, 11, v2
	v_sub_nc_u32_e32 v44, v103, v61
	s_delay_alu instid0(VALU_DEP_1)
	v_cmpx_lt_i32_e32 0, v44
	s_cbranch_execz .LBB16_629
; %bb.626:                              ;   in Loop: Header=BB16_545 Depth=3
	v_add_nc_u64_e32 v[2:3], v[116:117], v[82:83]
	v_add_nc_u64_e32 v[4:5], v[118:119], v[82:83]
	;; [unrolled: 1-line block ×3, first 2 shown]
	s_mov_b32 s14, 0
.LBB16_627:                             ;   Parent Loop BB16_73 Depth=1
                                        ;     Parent Loop BB16_542 Depth=2
                                        ;       Parent Loop BB16_545 Depth=3
                                        ; =>      This Inner Loop Header: Depth=4
	s_clause 0x3
	global_load_b128 v[22:25], v[2:3], off th:TH_LOAD_NT
	global_load_b128 v[74:77], v[2:3], off offset:512 th:TH_LOAD_NT
	global_load_b128 v[88:91], v[2:3], off offset:1024 th:TH_LOAD_NT
	;; [unrolled: 1-line block ×3, first 2 shown]
	v_sub_nc_u32_e32 v44, v44, v50
	s_wait_xcnt 0x0
	v_add_nc_u64_e32 v[2:3], v[2:3], v[54:55]
	s_wait_loadcnt 0x3
	global_store_b128 v[4:5], v[22:25], off th:TH_STORE_NT
	s_wait_loadcnt 0x2
	global_store_b128 v[4:5], v[74:77], off offset:512 th:TH_STORE_NT
	s_wait_loadcnt 0x1
	global_store_b128 v[4:5], v[88:91], off offset:1024 th:TH_STORE_NT
	;; [unrolled: 2-line block ×3, first 2 shown]
	s_clause 0x3
	global_store_b128 v[42:43], v[22:25], off th:TH_STORE_NT
	global_store_b128 v[42:43], v[74:77], off offset:512 th:TH_STORE_NT
	global_store_b128 v[42:43], v[88:91], off offset:1024 th:TH_STORE_NT
	;; [unrolled: 1-line block ×3, first 2 shown]
	v_cmp_gt_i32_e32 vcc_lo, 1, v44
	s_wait_xcnt 0x4
	v_add_nc_u64_e32 v[4:5], v[4:5], v[54:55]
	s_wait_xcnt 0x0
	v_add_nc_u64_e32 v[42:43], v[42:43], v[54:55]
	s_or_b32 s14, vcc_lo, s14
	s_delay_alu instid0(SALU_CYCLE_1)
	s_and_not1_b32 exec_lo, exec_lo, s14
	s_cbranch_execnz .LBB16_627
; %bb.628:                              ;   in Loop: Header=BB16_545 Depth=3
	s_or_b32 exec_lo, exec_lo, s14
.LBB16_629:                             ;   in Loop: Header=BB16_545 Depth=3
	s_delay_alu instid0(SALU_CYCLE_1) | instskip(SKIP_3) | instid1(VALU_DEP_1)
	s_or_b32 exec_lo, exec_lo, s13
	v_dual_lshlrev_b32 v73, 11, v103 :: v_dual_mov_b32 v103, 0
	s_mov_b32 s13, 0
	s_mov_b32 s43, exec_lo
                                        ; implicit-def: $vgpr113
                                        ; implicit-def: $vgpr42
                                        ; implicit-def: $vgpr2
	v_cmpx_ne_u32_e64 v48, v73
	s_cbranch_execz .LBB16_639
; %bb.630:                              ;   in Loop: Header=BB16_545 Depth=3
	v_dual_lshlrev_b32 v2, 5, v44 :: v_dual_sub_nc_u32 v4, v48, v73
	s_mov_b32 s44, exec_lo
	s_delay_alu instid0(VALU_DEP_1) | instskip(NEXT) | instid1(VALU_DEP_1)
	v_dual_sub_nc_u32 v2, v62, v2 :: v_dual_ashrrev_i32 v5, 31, v4
	v_dual_ashrrev_i32 v3, 31, v2 :: v_dual_lshrrev_b32 v5, 23, v5
	s_delay_alu instid0(VALU_DEP_1) | instskip(NEXT) | instid1(VALU_DEP_1)
	v_lshrrev_b32_e32 v3, 27, v3
	v_add_nc_u32_e32 v3, v2, v3
	s_delay_alu instid0(VALU_DEP_1) | instskip(NEXT) | instid1(VALU_DEP_1)
	v_and_b32_e32 v22, 0xffffffe0, v3
	v_dual_add_nc_u32 v5, v4, v5 :: v_dual_sub_nc_u32 v75, v2, v22
	s_delay_alu instid0(VALU_DEP_1) | instskip(SKIP_1) | instid1(VALU_DEP_2)
	v_and_b32_e32 v74, 0xfffffe00, v5
	v_dual_ashrrev_i32 v3, 5, v3 :: v_dual_ashrrev_i32 v5, 9, v5
	v_dual_lshlrev_b32 v2, 4, v75 :: v_dual_sub_nc_u32 v76, v4, v74
	s_delay_alu instid0(VALU_DEP_1) | instskip(NEXT) | instid1(VALU_DEP_2)
	v_lshl_add_u32 v2, v3, 9, v2
	v_cmp_lt_i32_e64 s13, 15, v76
	s_delay_alu instid0(VALU_DEP_1) | instskip(NEXT) | instid1(VALU_DEP_1)
	v_add_co_ci_u32_e64 v5, null, 0, v5, s13
	v_dual_sub_nc_u32 v103, v4, v2 :: v_dual_sub_nc_u32 v77, v5, v3
	s_delay_alu instid0(VALU_DEP_1)
	v_cmpx_lt_i32_e32 15, v103
	s_cbranch_execz .LBB16_636
; %bb.631:                              ;   in Loop: Header=BB16_545 Depth=3
	v_add_nc_u32_e32 v2, v2, v73
	s_mov_b32 s45, 0
	s_delay_alu instid0(VALU_DEP_1) | instskip(NEXT) | instid1(VALU_DEP_1)
	v_ashrrev_i32_e32 v3, 31, v2
	v_add_nc_u64_e32 v[42:43], v[2:3], v[116:117]
	v_add_nc_u64_e32 v[44:45], v[2:3], v[118:119]
	;; [unrolled: 1-line block ×3, first 2 shown]
.LBB16_632:                             ;   Parent Loop BB16_73 Depth=1
                                        ;     Parent Loop BB16_542 Depth=2
                                        ;       Parent Loop BB16_545 Depth=3
                                        ; =>      This Loop Header: Depth=4
                                        ;           Child Loop BB16_633 Depth 5
	global_load_b128 v[2:5], v[42:43], off th:TH_LOAD_NT
	s_mov_b64 s[16:17], 0
	s_mov_b32 s46, -1
.LBB16_633:                             ;   Parent Loop BB16_73 Depth=1
                                        ;     Parent Loop BB16_542 Depth=2
                                        ;       Parent Loop BB16_545 Depth=3
                                        ;         Parent Loop BB16_632 Depth=4
                                        ; =>        This Inner Loop Header: Depth=5
	s_cmp_eq_u32 s16, 1
	s_cselect_b32 vcc_lo, -1, 0
	s_cmp_eq_u32 s16, 0
	s_wait_xcnt 0x0
	v_dual_cndmask_b32 v23, v45, v47 :: v_dual_cndmask_b32 v22, v44, v46
	s_cselect_b32 s14, -1, 0
	s_and_b32 s15, exec_lo, s46
	s_mov_b64 s[16:17], 1
	s_mov_b32 s46, 0
	v_add_nc_u64_e32 v[24:25], 0x200, v[22:23]
	s_wait_loadcnt 0x0
	global_store_b128 v[22:23], v[2:5], off th:TH_STORE_NT
	v_dual_cndmask_b32 v47, v47, v25 :: v_dual_cndmask_b32 v46, v46, v24
	v_dual_cndmask_b32 v45, v45, v25, s14 :: v_dual_cndmask_b32 v44, v44, v24, s14
	s_mov_b32 vcc_lo, s15
	s_cbranch_vccnz .LBB16_633
; %bb.634:                              ;   in Loop: Header=BB16_632 Depth=4
	v_dual_sub_nc_u32 v103, v103, v60 :: v_dual_sub_nc_u32 v77, v77, v50
	s_delay_alu instid0(VALU_DEP_2)
	v_add_nc_u64_e32 v[44:45], v[44:45], v[80:81]
	v_add_nc_u64_e32 v[46:47], v[46:47], v[80:81]
	s_wait_xcnt 0x1
	v_add_nc_u64_e32 v[42:43], v[86:87], v[42:43]
	v_cmp_gt_i32_e32 vcc_lo, 16, v103
	s_or_b32 s45, vcc_lo, s45
	s_wait_xcnt 0x0
	s_and_not1_b32 exec_lo, exec_lo, s45
	s_cbranch_execnz .LBB16_632
; %bb.635:                              ;   in Loop: Header=BB16_545 Depth=3
	s_or_b32 exec_lo, exec_lo, s45
.LBB16_636:                             ;   in Loop: Header=BB16_545 Depth=3
	s_delay_alu instid0(SALU_CYCLE_1) | instskip(SKIP_3) | instid1(VALU_DEP_1)
	s_or_b32 exec_lo, exec_lo, s44
	v_dual_mov_b32 v103, 0 :: v_dual_bitop2_b32 v3, 15, v48 bitop3:0x40
	s_mov_b32 s14, 0
	s_mov_b32 s15, exec_lo
                                        ; implicit-def: $vgpr42
                                        ; implicit-def: $vgpr2
	v_cndmask_b32_e64 v113, v76, v3, s13
	s_delay_alu instid0(VALU_DEP_1)
	v_cmpx_ne_u32_e32 0, v113
	s_cbranch_execz .LBB16_638
; %bb.637:                              ;   in Loop: Header=BB16_545 Depth=3
	v_cmp_lt_i32_e32 vcc_lo, 0, v77
	s_mov_b32 s14, exec_lo
	v_dual_cndmask_b32 v2, 0, v50 :: v_dual_sub_nc_u32 v3, v76, v3
	s_delay_alu instid0(VALU_DEP_1) | instskip(NEXT) | instid1(VALU_DEP_1)
	v_dual_cndmask_b32 v3, 0, v3, s13 :: v_dual_sub_nc_u32 v2, v2, v77
	v_add3_u32 v103, v74, v73, v3
	s_delay_alu instid0(VALU_DEP_2) | instskip(NEXT) | instid1(VALU_DEP_1)
	v_lshl_add_u32 v42, v2, 5, v75
	v_ashrrev_i32_e32 v2, 31, v42
	s_delay_alu instid0(VALU_DEP_1) | instskip(NEXT) | instid1(VALU_DEP_1)
	v_lshrrev_b32_e32 v2, 27, v2
	v_add_nc_u32_e32 v2, v42, v2
	s_delay_alu instid0(VALU_DEP_1)
	v_ashrrev_i32_e32 v2, 5, v2
.LBB16_638:                             ;   in Loop: Header=BB16_545 Depth=3
	s_or_b32 exec_lo, exec_lo, s15
	s_delay_alu instid0(SALU_CYCLE_1)
	s_and_b32 s13, s14, exec_lo
.LBB16_639:                             ;   in Loop: Header=BB16_545 Depth=3
	s_or_b32 exec_lo, exec_lo, s43
	s_and_saveexec_b32 s15, s13
	s_cbranch_execz .LBB16_650
.LBB16_640:                             ;   in Loop: Header=BB16_545 Depth=3
	v_ashrrev_i32_e32 v3, 31, v113
	s_mov_b32 s13, exec_lo
	s_delay_alu instid0(VALU_DEP_1) | instskip(NEXT) | instid1(VALU_DEP_1)
	v_lshrrev_b32_e32 v3, 22, v3
	v_add_nc_u32_e32 v3, v113, v3
	s_delay_alu instid0(VALU_DEP_1) | instskip(NEXT) | instid1(VALU_DEP_1)
	v_dual_ashrrev_i32 v45, 10, v3 :: v_dual_ashrrev_i32 v3, 31, v42
	v_dual_sub_nc_u32 v43, v45, v2 :: v_dual_lshrrev_b32 v44, 27, v3
	s_delay_alu instid0(VALU_DEP_1)
	v_cmpx_lt_i32_e32 0, v43
	s_cbranch_execz .LBB16_644
; %bb.641:                              ;   in Loop: Header=BB16_545 Depth=3
	s_delay_alu instid0(VALU_DEP_2) | instskip(SKIP_2) | instid1(VALU_DEP_2)
	v_dual_add_nc_u32 v3, v42, v44 :: v_dual_lshlrev_b32 v2, 10, v2
	v_add_nc_u64_e32 v[24:25], 0x3e0, v[116:117]
	s_mov_b32 s14, 0
	v_and_b32_e32 v3, 0xffffffe0, v3
	s_delay_alu instid0(VALU_DEP_1) | instskip(NEXT) | instid1(VALU_DEP_1)
	v_sub_nc_u32_e32 v3, v42, v3
	v_add3_u32 v22, v103, v3, v2
	s_delay_alu instid0(VALU_DEP_1) | instskip(NEXT) | instid1(VALU_DEP_1)
	v_ashrrev_i32_e32 v23, 31, v22
	v_add_nc_u64_e32 v[2:3], v[22:23], v[118:119]
	v_add_nc_u64_e32 v[4:5], v[22:23], v[40:41]
	;; [unrolled: 1-line block ×3, first 2 shown]
.LBB16_642:                             ;   Parent Loop BB16_73 Depth=1
                                        ;     Parent Loop BB16_542 Depth=2
                                        ;       Parent Loop BB16_545 Depth=3
                                        ; =>      This Inner Loop Header: Depth=4
	s_clause 0x1f
	flat_load_u8 v22, v[40:41] offset:-992 th:TH_LOAD_NT
	flat_load_u8 v23, v[40:41] offset:-960 th:TH_LOAD_NT
	;; [unrolled: 1-line block ×31, first 2 shown]
	flat_load_u8 v126, v[40:41] th:TH_LOAD_NT
	v_sub_nc_u32_e32 v43, v43, v50
	s_wait_xcnt 0x0
	v_add_nc_u64_e32 v[40:41], v[40:41], v[66:67]
	s_wait_loadcnt_dscnt 0x1f1f
	flat_store_b8 v[2:3], v22 th:TH_STORE_NT
	s_wait_loadcnt_dscnt 0x1e1f
	flat_store_b8 v[2:3], v23 offset:32 th:TH_STORE_NT
	s_wait_loadcnt_dscnt 0x1d1f
	flat_store_b8 v[2:3], v24 offset:64 th:TH_STORE_NT
	;; [unrolled: 2-line block ×31, first 2 shown]
	s_clause 0x1f
	flat_store_b8 v[4:5], v22 th:TH_STORE_NT
	flat_store_b8 v[4:5], v23 offset:32 th:TH_STORE_NT
	flat_store_b8 v[4:5], v24 offset:64 th:TH_STORE_NT
	;; [unrolled: 1-line block ×31, first 2 shown]
	v_cmp_gt_i32_e32 vcc_lo, 1, v43
	s_wait_xcnt 0x20
	v_add_nc_u64_e32 v[2:3], v[2:3], v[66:67]
	s_wait_xcnt 0x0
	v_add_nc_u64_e32 v[4:5], v[4:5], v[66:67]
	s_or_b32 s14, vcc_lo, s14
	s_delay_alu instid0(SALU_CYCLE_1)
	s_and_not1_b32 exec_lo, exec_lo, s14
	s_cbranch_execnz .LBB16_642
; %bb.643:                              ;   in Loop: Header=BB16_545 Depth=3
	s_or_b32 exec_lo, exec_lo, s14
.LBB16_644:                             ;   in Loop: Header=BB16_545 Depth=3
	s_delay_alu instid0(SALU_CYCLE_1) | instskip(SKIP_1) | instid1(VALU_DEP_1)
	s_or_b32 exec_lo, exec_lo, s13
	v_lshlrev_b32_e32 v2, 10, v45
	v_cmp_ne_u32_e32 vcc_lo, v113, v2
	s_and_b32 exec_lo, exec_lo, vcc_lo
	s_cbranch_execz .LBB16_650
; %bb.645:                              ;   in Loop: Header=BB16_545 Depth=3
	v_dual_add_nc_u32 v3, v42, v44 :: v_dual_lshlrev_b32 v4, 5, v43
	s_delay_alu instid0(VALU_DEP_1) | instskip(NEXT) | instid1(VALU_DEP_1)
	v_and_b32_e32 v3, 0xffffffe0, v3
	v_sub_nc_u32_e32 v3, v42, v3
	s_delay_alu instid0(VALU_DEP_1) | instskip(NEXT) | instid1(VALU_DEP_1)
	v_sub_nc_u32_e32 v3, v3, v4
	v_add_nc_u32_e32 v2, v2, v3
	s_delay_alu instid0(VALU_DEP_1) | instskip(NEXT) | instid1(VALU_DEP_1)
	v_sub_nc_u32_e32 v113, v113, v2
	v_cmp_lt_i32_e32 vcc_lo, 0, v113
	s_and_b32 exec_lo, exec_lo, vcc_lo
	s_cbranch_execz .LBB16_650
; %bb.646:                              ;   in Loop: Header=BB16_545 Depth=3
	s_trap 2
	ds_load_b64 v[4:5], v0
	ds_load_b128 v[22:25], v0
	v_add_nc_u32_e32 v40, v2, v103
	s_mov_b32 s43, 0
	s_delay_alu instid0(VALU_DEP_1) | instskip(SKIP_1) | instid1(VALU_DEP_1)
	v_ashrrev_i32_e32 v41, 31, v40
	s_wait_dscnt 0x1
	v_add_nc_u64_e32 v[2:3], v[4:5], v[40:41]
	s_wait_dscnt 0x0
	v_add_nc_u64_e32 v[4:5], v[22:23], v[40:41]
	v_add_nc_u64_e32 v[40:41], v[24:25], v[40:41]
.LBB16_647:                             ;   Parent Loop BB16_73 Depth=1
                                        ;     Parent Loop BB16_542 Depth=2
                                        ;       Parent Loop BB16_545 Depth=3
                                        ; =>      This Loop Header: Depth=4
                                        ;           Child Loop BB16_648 Depth 5
	flat_load_u8 v103, v[2:3] th:TH_LOAD_NT
	s_mov_b64 s[16:17], 0
	s_mov_b32 s44, -1
.LBB16_648:                             ;   Parent Loop BB16_73 Depth=1
                                        ;     Parent Loop BB16_542 Depth=2
                                        ;       Parent Loop BB16_545 Depth=3
                                        ;         Parent Loop BB16_647 Depth=4
                                        ; =>        This Inner Loop Header: Depth=5
	s_cmp_eq_u32 s16, 1
	s_cselect_b32 vcc_lo, -1, 0
	s_cmp_eq_u32 s16, 0
	s_wait_xcnt 0x0
	v_dual_cndmask_b32 v23, v5, v41 :: v_dual_cndmask_b32 v22, v4, v40
	s_cselect_b32 s13, -1, 0
	s_and_b32 s14, exec_lo, s44
	s_mov_b64 s[16:17], 1
	s_mov_b32 s44, 0
	v_add_nc_u64_e32 v[24:25], 32, v[22:23]
	s_wait_loadcnt_dscnt 0x0
	flat_store_b8 v[22:23], v103 th:TH_STORE_NT
	v_dual_cndmask_b32 v41, v41, v25 :: v_dual_cndmask_b32 v40, v40, v24
	v_dual_cndmask_b32 v5, v5, v25, s13 :: v_dual_cndmask_b32 v4, v4, v24, s13
	s_mov_b32 vcc_lo, s14
	s_cbranch_vccnz .LBB16_648
; %bb.649:                              ;   in Loop: Header=BB16_647 Depth=4
	v_sub_nc_u32_e32 v113, v113, v57
	s_delay_alu instid0(VALU_DEP_2)
	v_add_nc_u64_e32 v[4:5], v[4:5], v[68:69]
	v_add_nc_u64_e32 v[40:41], v[40:41], v[68:69]
	s_wait_xcnt 0x1
	v_add_nc_u64_e32 v[2:3], v[84:85], v[2:3]
	v_cmp_gt_i32_e32 vcc_lo, 1, v113
	s_or_b32 s43, vcc_lo, s43
	s_wait_xcnt 0x0
	s_and_not1_b32 exec_lo, exec_lo, s43
	s_cbranch_execnz .LBB16_647
.LBB16_650:                             ;   in Loop: Header=BB16_545 Depth=3
	s_or_b32 exec_lo, exec_lo, s15
	s_mov_b32 s13, 0
.LBB16_651:                             ;   in Loop: Header=BB16_545 Depth=3
	s_delay_alu instid0(SALU_CYCLE_1)
	s_and_b32 vcc_lo, exec_lo, s13
	s_cbranch_vccz .LBB16_680
; %bb.652:                              ;   in Loop: Header=BB16_545 Depth=3
	s_mov_b32 s13, -1
	s_and_saveexec_b32 s14, s11
	s_cbranch_execz .LBB16_654
; %bb.653:                              ;   in Loop: Header=BB16_545 Depth=3
	ds_load_b32 v2, v0 offset:720
	s_wait_dscnt 0x0
	v_and_b32_e32 v2, 15, v2
	s_delay_alu instid0(VALU_DEP_1)
	v_cmp_eq_u32_e32 vcc_lo, 0, v2
	s_or_not1_b32 s13, vcc_lo, exec_lo
.LBB16_654:                             ;   in Loop: Header=BB16_545 Depth=3
	s_or_b32 exec_lo, exec_lo, s14
	s_and_saveexec_b32 s14, s6
	s_cbranch_execz .LBB16_656
; %bb.655:                              ;   in Loop: Header=BB16_545 Depth=3
	ds_load_b32 v2, v0 offset:784
	s_wait_dscnt 0x0
	v_and_b32_e32 v2, 15, v2
	s_delay_alu instid0(VALU_DEP_1) | instskip(SKIP_3) | instid1(SALU_CYCLE_1)
	v_cmp_eq_u32_e32 vcc_lo, 0, v2
	s_and_b32 s15, s13, vcc_lo
	s_and_not1_b32 s13, s13, exec_lo
	s_and_b32 s15, s15, exec_lo
	s_or_b32 s13, s13, s15
.LBB16_656:                             ;   in Loop: Header=BB16_545 Depth=3
	s_or_b32 exec_lo, exec_lo, s14
	s_xor_b32 s13, s13, -1
	v_dual_mov_b32 v4, 0 :: v_dual_mov_b32 v5, v48
	v_cndmask_b32_e64 v2, 0, 1, s13
	v_mov_b32_e32 v103, v0
	s_mov_b32 s15, -1
	s_delay_alu instid0(VALU_DEP_2)
	v_cmp_ne_u32_e32 vcc_lo, 0, v2
	v_mov_b32_e32 v2, v61
	s_cbranch_vccz .LBB16_658
; %bb.657:                              ;   in Loop: Header=BB16_545 Depth=3
	s_and_saveexec_b32 s13, s15
	s_cbranch_execnz .LBB16_671
	s_branch .LBB16_679
.LBB16_658:                             ;   in Loop: Header=BB16_545 Depth=3
	v_ashrrev_i32_e32 v2, 31, v48
	s_mov_b32 s13, exec_lo
	s_delay_alu instid0(VALU_DEP_1) | instskip(NEXT) | instid1(VALU_DEP_1)
	v_lshrrev_b32_e32 v2, 20, v2
	v_add_nc_u32_e32 v2, v48, v2
	s_delay_alu instid0(VALU_DEP_1) | instskip(NEXT) | instid1(VALU_DEP_1)
	v_ashrrev_i32_e32 v103, 12, v2
	v_sub_nc_u32_e32 v40, v103, v61
	s_delay_alu instid0(VALU_DEP_1)
	v_cmpx_lt_i32_e32 0, v40
	s_cbranch_execz .LBB16_662
; %bb.659:                              ;   in Loop: Header=BB16_545 Depth=3
	v_mov_b64_e32 v[2:3], v[118:119]
	v_mov_b64_e32 v[4:5], v[116:117]
	s_mov_b32 s14, 0
.LBB16_660:                             ;   Parent Loop BB16_73 Depth=1
                                        ;     Parent Loop BB16_542 Depth=2
                                        ;       Parent Loop BB16_545 Depth=3
                                        ; =>      This Inner Loop Header: Depth=4
	s_delay_alu instid0(VALU_DEP_1)
	v_add_nc_u64_e32 v[46:47], v[96:97], v[4:5]
	v_sub_nc_u32_e32 v40, v40, v50
	v_add_nc_u64_e32 v[4:5], v[4:5], v[70:71]
	s_clause 0x7
	global_load_b128 v[22:25], v[46:47], off th:TH_LOAD_NT
	global_load_b128 v[42:45], v[46:47], off offset:512 th:TH_LOAD_NT
	global_load_b128 v[74:77], v[46:47], off offset:1024 th:TH_LOAD_NT
	;; [unrolled: 1-line block ×7, first 2 shown]
	s_wait_xcnt 0x0
	v_add_nc_u64_e32 v[46:47], v[96:97], v[2:3]
	v_add_nc_u64_e32 v[2:3], v[2:3], v[70:71]
	v_cmp_gt_i32_e32 vcc_lo, 1, v40
	s_wait_loadcnt 0x7
	global_store_b128 v[46:47], v[22:25], off th:TH_STORE_NT
	s_wait_loadcnt 0x6
	global_store_b128 v[46:47], v[42:45], off offset:512 th:TH_STORE_NT
	s_wait_loadcnt 0x5
	global_store_b128 v[46:47], v[74:77], off offset:1024 th:TH_STORE_NT
	;; [unrolled: 2-line block ×7, first 2 shown]
	s_or_b32 s14, vcc_lo, s14
	s_wait_xcnt 0x0
	s_and_not1_b32 exec_lo, exec_lo, s14
	s_cbranch_execnz .LBB16_660
; %bb.661:                              ;   in Loop: Header=BB16_545 Depth=3
	s_or_b32 exec_lo, exec_lo, s14
.LBB16_662:                             ;   in Loop: Header=BB16_545 Depth=3
	s_delay_alu instid0(SALU_CYCLE_1) | instskip(SKIP_3) | instid1(VALU_DEP_1)
	s_or_b32 exec_lo, exec_lo, s13
	v_dual_mov_b32 v4, 0 :: v_dual_lshlrev_b32 v113, 12, v103
	s_mov_b32 s15, 0
	s_mov_b32 s14, exec_lo
                                        ; implicit-def: $vgpr5
                                        ; implicit-def: $vgpr103
                                        ; implicit-def: $vgpr2
	v_cmpx_ne_u32_e64 v48, v113
	s_cbranch_execz .LBB16_670
; %bb.663:                              ;   in Loop: Header=BB16_545 Depth=3
	v_dual_lshlrev_b32 v2, 5, v40 :: v_dual_sub_nc_u32 v4, v48, v113
	s_mov_b32 s15, exec_lo
	s_delay_alu instid0(VALU_DEP_1) | instskip(NEXT) | instid1(VALU_DEP_1)
	v_dual_sub_nc_u32 v2, v62, v2 :: v_dual_ashrrev_i32 v5, 31, v4
	v_dual_ashrrev_i32 v3, 31, v2 :: v_dual_lshrrev_b32 v5, 23, v5
	s_delay_alu instid0(VALU_DEP_1) | instskip(NEXT) | instid1(VALU_DEP_1)
	v_lshrrev_b32_e32 v3, 27, v3
	v_add_nc_u32_e32 v3, v2, v3
	s_delay_alu instid0(VALU_DEP_1) | instskip(NEXT) | instid1(VALU_DEP_1)
	v_and_b32_e32 v22, 0xffffffe0, v3
	v_dual_add_nc_u32 v5, v4, v5 :: v_dual_sub_nc_u32 v41, v2, v22
	s_delay_alu instid0(VALU_DEP_1) | instskip(SKIP_1) | instid1(VALU_DEP_2)
	v_and_b32_e32 v40, 0xfffffe00, v5
	v_dual_ashrrev_i32 v3, 5, v3 :: v_dual_ashrrev_i32 v5, 9, v5
	v_dual_lshlrev_b32 v2, 4, v41 :: v_dual_sub_nc_u32 v42, v4, v40
	s_delay_alu instid0(VALU_DEP_1) | instskip(NEXT) | instid1(VALU_DEP_2)
	v_lshl_add_u32 v2, v3, 9, v2
	v_cmp_lt_i32_e32 vcc_lo, 15, v42
	s_delay_alu instid0(VALU_DEP_4) | instskip(NEXT) | instid1(VALU_DEP_1)
	v_add_co_ci_u32_e64 v5, null, 0, v5, vcc_lo
	v_dual_sub_nc_u32 v4, v4, v2 :: v_dual_sub_nc_u32 v43, v5, v3
	s_delay_alu instid0(VALU_DEP_1)
	v_cmpx_lt_i32_e32 15, v4
	s_cbranch_execz .LBB16_667
; %bb.664:                              ;   in Loop: Header=BB16_545 Depth=3
	v_add_nc_u32_e32 v2, v2, v113
	s_mov_b32 s16, 0
	s_delay_alu instid0(VALU_DEP_1)
	v_ashrrev_i32_e32 v3, 31, v2
.LBB16_665:                             ;   Parent Loop BB16_73 Depth=1
                                        ;     Parent Loop BB16_542 Depth=2
                                        ;       Parent Loop BB16_545 Depth=3
                                        ; =>      This Inner Loop Header: Depth=4
	s_delay_alu instid0(VALU_DEP_1) | instskip(SKIP_3) | instid1(VALU_DEP_3)
	v_add_nc_u64_e32 v[22:23], v[116:117], v[2:3]
	v_dual_sub_nc_u32 v4, v4, v60 :: v_dual_sub_nc_u32 v43, v43, v50
	v_add_nc_u64_e32 v[44:45], v[118:119], v[2:3]
	v_add_nc_u64_e32 v[2:3], v[2:3], v[86:87]
	v_cmp_gt_i32_e64 s13, 16, v4
	global_load_b128 v[22:25], v[22:23], off th:TH_LOAD_NT
	s_or_b32 s16, s13, s16
	s_wait_loadcnt 0x0
	global_store_b128 v[44:45], v[22:25], off th:TH_STORE_NT
	s_wait_xcnt 0x0
	s_and_not1_b32 exec_lo, exec_lo, s16
	s_cbranch_execnz .LBB16_665
; %bb.666:                              ;   in Loop: Header=BB16_545 Depth=3
	s_or_b32 exec_lo, exec_lo, s16
.LBB16_667:                             ;   in Loop: Header=BB16_545 Depth=3
	s_delay_alu instid0(SALU_CYCLE_1) | instskip(SKIP_3) | instid1(VALU_DEP_1)
	s_or_b32 exec_lo, exec_lo, s15
	v_dual_mov_b32 v4, 0 :: v_dual_bitop2_b32 v3, 15, v48 bitop3:0x40
	s_mov_b32 s15, 0
	s_mov_b32 s16, exec_lo
                                        ; implicit-def: $vgpr103
                                        ; implicit-def: $vgpr2
	v_cndmask_b32_e32 v5, v42, v3, vcc_lo
	s_delay_alu instid0(VALU_DEP_1)
	v_cmpx_ne_u32_e32 0, v5
	s_cbranch_execz .LBB16_669
; %bb.668:                              ;   in Loop: Header=BB16_545 Depth=3
	v_cmp_lt_i32_e64 s13, 0, v43
	s_mov_b32 s15, exec_lo
	v_dual_sub_nc_u32 v3, v42, v3 :: v_dual_cndmask_b32 v2, 0, v50, s13
	s_delay_alu instid0(VALU_DEP_1) | instskip(NEXT) | instid1(VALU_DEP_2)
	v_cndmask_b32_e32 v3, 0, v3, vcc_lo
	v_sub_nc_u32_e32 v2, v2, v43
	s_delay_alu instid0(VALU_DEP_2) | instskip(NEXT) | instid1(VALU_DEP_2)
	v_add3_u32 v4, v40, v113, v3
	v_lshl_add_u32 v103, v2, 5, v41
	s_delay_alu instid0(VALU_DEP_1) | instskip(NEXT) | instid1(VALU_DEP_1)
	v_ashrrev_i32_e32 v2, 31, v103
	v_lshrrev_b32_e32 v2, 27, v2
	s_delay_alu instid0(VALU_DEP_1) | instskip(NEXT) | instid1(VALU_DEP_1)
	v_add_nc_u32_e32 v2, v103, v2
	v_ashrrev_i32_e32 v2, 5, v2
.LBB16_669:                             ;   in Loop: Header=BB16_545 Depth=3
	s_or_b32 exec_lo, exec_lo, s16
	s_delay_alu instid0(SALU_CYCLE_1)
	s_and_b32 s15, s15, exec_lo
.LBB16_670:                             ;   in Loop: Header=BB16_545 Depth=3
	s_or_b32 exec_lo, exec_lo, s14
	s_and_saveexec_b32 s13, s15
	s_cbranch_execz .LBB16_679
.LBB16_671:                             ;   in Loop: Header=BB16_545 Depth=3
	v_ashrrev_i32_e32 v3, 31, v5
	s_mov_b32 s14, exec_lo
	s_delay_alu instid0(VALU_DEP_1) | instskip(NEXT) | instid1(VALU_DEP_1)
	v_lshrrev_b32_e32 v3, 22, v3
	v_add_nc_u32_e32 v3, v5, v3
	s_delay_alu instid0(VALU_DEP_1) | instskip(NEXT) | instid1(VALU_DEP_1)
	v_ashrrev_i32_e32 v40, 10, v3
	v_sub_nc_u32_e32 v113, v40, v2
	s_delay_alu instid0(VALU_DEP_1)
	v_cmpx_lt_i32_e32 0, v113
	s_cbranch_execz .LBB16_675
; %bb.672:                              ;   in Loop: Header=BB16_545 Depth=3
	v_dual_ashrrev_i32 v3, 31, v103 :: v_dual_lshlrev_b32 v2, 10, v2
	s_mov_b32 s15, 0
	s_delay_alu instid0(VALU_DEP_1) | instskip(NEXT) | instid1(VALU_DEP_1)
	v_lshrrev_b32_e32 v3, 27, v3
	v_add_nc_u32_e32 v3, v103, v3
	s_delay_alu instid0(VALU_DEP_1) | instskip(NEXT) | instid1(VALU_DEP_1)
	v_and_b32_e32 v3, 0xffffffe0, v3
	v_sub_nc_u32_e32 v3, v103, v3
	s_delay_alu instid0(VALU_DEP_1) | instskip(NEXT) | instid1(VALU_DEP_1)
	v_add3_u32 v2, v4, v3, v2
	v_ashrrev_i32_e32 v3, 31, v2
.LBB16_673:                             ;   Parent Loop BB16_73 Depth=1
                                        ;     Parent Loop BB16_542 Depth=2
                                        ;       Parent Loop BB16_545 Depth=3
                                        ; =>      This Inner Loop Header: Depth=4
	s_delay_alu instid0(VALU_DEP_1)
	v_add_nc_u64_e32 v[22:23], v[2:3], v[116:117]
	v_sub_nc_u32_e32 v113, v113, v50
	v_add_nc_u64_e32 v[116:117], v[116:117], v[66:67]
	s_clause 0x1f
	flat_load_u8 v24, v[22:23] th:TH_LOAD_NT
	flat_load_u8 v25, v[22:23] offset:32 th:TH_LOAD_NT
	flat_load_u8 v41, v[22:23] offset:64 th:TH_LOAD_NT
	;; [unrolled: 1-line block ×31, first 2 shown]
	s_wait_xcnt 0x0
	v_add_nc_u64_e32 v[22:23], v[2:3], v[118:119]
	v_add_nc_u64_e32 v[118:119], v[118:119], v[66:67]
	v_cmp_gt_i32_e32 vcc_lo, 1, v113
	s_wait_loadcnt_dscnt 0x1f1f
	flat_store_b8 v[22:23], v24 th:TH_STORE_NT
	s_wait_loadcnt_dscnt 0x1e1f
	flat_store_b8 v[22:23], v25 offset:32 th:TH_STORE_NT
	s_wait_loadcnt_dscnt 0x1d1f
	flat_store_b8 v[22:23], v41 offset:64 th:TH_STORE_NT
	;; [unrolled: 2-line block ×31, first 2 shown]
	s_or_b32 s15, vcc_lo, s15
	s_wait_xcnt 0x0
	s_and_not1_b32 exec_lo, exec_lo, s15
	s_cbranch_execnz .LBB16_673
; %bb.674:                              ;   in Loop: Header=BB16_545 Depth=3
	s_or_b32 exec_lo, exec_lo, s15
.LBB16_675:                             ;   in Loop: Header=BB16_545 Depth=3
	s_delay_alu instid0(SALU_CYCLE_1) | instskip(SKIP_1) | instid1(VALU_DEP_1)
	s_or_b32 exec_lo, exec_lo, s14
	v_lshlrev_b32_e32 v2, 10, v40
	v_cmp_ne_u32_e32 vcc_lo, v5, v2
	s_and_b32 exec_lo, exec_lo, vcc_lo
	s_cbranch_execz .LBB16_679
; %bb.676:                              ;   in Loop: Header=BB16_545 Depth=3
	v_dual_ashrrev_i32 v3, 31, v103 :: v_dual_lshlrev_b32 v22, 5, v113
	s_delay_alu instid0(VALU_DEP_1) | instskip(NEXT) | instid1(VALU_DEP_1)
	v_lshrrev_b32_e32 v3, 27, v3
	v_add_nc_u32_e32 v3, v103, v3
	s_delay_alu instid0(VALU_DEP_1) | instskip(NEXT) | instid1(VALU_DEP_1)
	v_and_b32_e32 v3, 0xffffffe0, v3
	v_sub_nc_u32_e32 v3, v103, v3
	s_delay_alu instid0(VALU_DEP_1) | instskip(NEXT) | instid1(VALU_DEP_1)
	v_sub_nc_u32_e32 v3, v3, v22
	v_add_nc_u32_e32 v113, v2, v3
	s_delay_alu instid0(VALU_DEP_1) | instskip(NEXT) | instid1(VALU_DEP_1)
	v_sub_nc_u32_e32 v103, v5, v113
	v_cmp_lt_i32_e32 vcc_lo, 0, v103
	s_and_b32 exec_lo, exec_lo, vcc_lo
	s_cbranch_execz .LBB16_679
; %bb.677:                              ;   in Loop: Header=BB16_545 Depth=3
	s_trap 2
	ds_load_b64 v[2:3], v0
	v_add_nc_u32_e32 v4, v113, v4
	s_mov_b32 s14, 0
	s_delay_alu instid0(VALU_DEP_1)
	v_ashrrev_i32_e32 v5, 31, v4
.LBB16_678:                             ;   Parent Loop BB16_73 Depth=1
                                        ;     Parent Loop BB16_542 Depth=2
                                        ;       Parent Loop BB16_545 Depth=3
                                        ; =>      This Inner Loop Header: Depth=4
	s_wait_dscnt 0x0
	s_delay_alu instid0(VALU_DEP_1) | instskip(SKIP_2) | instid1(VALU_DEP_2)
	v_add_nc_u64_e32 v[22:23], v[2:3], v[4:5]
	v_sub_nc_u32_e32 v103, v103, v57
	v_add_nc_u64_e32 v[4:5], v[4:5], v[84:85]
	v_cmp_gt_i32_e32 vcc_lo, 1, v103
	flat_load_u8 v24, v[22:23] th:TH_LOAD_NT
	s_or_b32 s14, vcc_lo, s14
	s_wait_loadcnt_dscnt 0x0
	flat_store_b8 v[22:23], v24 th:TH_STORE_NT
	s_wait_xcnt 0x0
	s_and_not1_b32 exec_lo, exec_lo, s14
	s_cbranch_execnz .LBB16_678
.LBB16_679:                             ;   in Loop: Header=BB16_545 Depth=3
	s_or_b32 exec_lo, exec_lo, s13
.LBB16_680:                             ;   in Loop: Header=BB16_545 Depth=3
	v_cmp_lt_i32_e64 s13, 0, v48
	s_and_saveexec_b32 s14, s1
	s_cbranch_execz .LBB16_621
.LBB16_681:                             ;   in Loop: Header=BB16_545 Depth=3
	s_and_saveexec_b32 s15, s2
	s_delay_alu instid0(SALU_CYCLE_1)
	s_xor_b32 s15, exec_lo, s15
	s_cbranch_execz .LBB16_696
; %bb.682:                              ;   in Loop: Header=BB16_545 Depth=3
	s_and_saveexec_b32 s16, s5
	s_cbranch_execz .LBB16_695
; %bb.683:                              ;   in Loop: Header=BB16_545 Depth=3
	s_mov_b32 s43, exec_lo
	s_mov_b32 s17, exec_lo
	v_mbcnt_lo_u32_b32 v2, s43, 0
	global_wb scope:SCOPE_DEV
	s_wait_storecnt 0x0
	s_wait_loadcnt_dscnt 0x0
	global_inv scope:SCOPE_DEV
	v_cmpx_eq_u32_e32 0, v2
	s_cbranch_execz .LBB16_685
; %bb.684:                              ;   in Loop: Header=BB16_545 Depth=3
	s_bcnt1_i32_b32 s43, s43
	s_delay_alu instid0(SALU_CYCLE_1)
	v_mov_b32_e32 v48, s43
	s_wait_loadcnt 0x0
	ds_add_u64 v0, v[48:49]
	s_trap 2
.LBB16_685:                             ;   in Loop: Header=BB16_545 Depth=3
	s_or_b32 exec_lo, exec_lo, s17
	s_trap 2
	ds_load_b64 v[2:3], v0
	s_wait_dscnt 0x0
	v_add_nc_u64_e32 v[14:15], v[14:15], v[50:51]
	s_mov_b32 s17, exec_lo
	s_delay_alu instid0(VALU_DEP_1)
	v_cmpx_lt_u64_e64 v[2:3], v[14:15]
	s_cbranch_execz .LBB16_694
; %bb.686:                              ;   in Loop: Header=BB16_545 Depth=3
	s_mov_b32 s43, 0
	s_mov_b32 s46, 0
                                        ; implicit-def: $sgpr44
                                        ; implicit-def: $sgpr45
	s_branch .LBB16_688
.LBB16_687:                             ;   in Loop: Header=BB16_688 Depth=4
	s_or_b32 exec_lo, exec_lo, s56
	s_delay_alu instid0(SALU_CYCLE_1) | instskip(NEXT) | instid1(SALU_CYCLE_1)
	s_and_b32 s47, exec_lo, s57
	s_or_b32 s43, s47, s43
	s_and_not1_b32 s44, s44, exec_lo
	s_and_b32 s47, s45, exec_lo
	s_delay_alu instid0(SALU_CYCLE_1)
	s_or_b32 s44, s44, s47
	s_and_not1_b32 exec_lo, exec_lo, s43
	s_cbranch_execz .LBB16_692
.LBB16_688:                             ;   Parent Loop BB16_73 Depth=1
                                        ;     Parent Loop BB16_542 Depth=2
                                        ;       Parent Loop BB16_545 Depth=3
                                        ; =>      This Inner Loop Header: Depth=4
	s_add_co_i32 s46, s46, 1
	s_delay_alu instid0(SALU_CYCLE_1) | instskip(SKIP_1) | instid1(SALU_CYCLE_1)
	s_cmp_lg_u32 s46, 0x2710
	s_cselect_b32 s47, -1, 0
	s_and_b32 vcc_lo, exec_lo, s47
	s_cbranch_vccz .LBB16_690
; %bb.689:                              ;   in Loop: Header=BB16_688 Depth=4
	s_mov_b32 s57, -1
	s_or_b32 s45, s45, exec_lo
	s_and_saveexec_b32 s56, s47
	s_cbranch_execz .LBB16_687
	s_branch .LBB16_691
.LBB16_690:                             ;   in Loop: Header=BB16_688 Depth=4
	s_trap 2
	ds_load_b64 v[2:3], v0
	s_and_not1_b32 s47, s47, exec_lo
	s_mov_b32 s46, 0
	s_wait_loadcnt_dscnt 0x0
	flat_load_b32 v2, v[2:3] scope:SCOPE_SYS
	s_wait_loadcnt_dscnt 0x0
	global_inv scope:SCOPE_SYS
	v_cmp_eq_u32_e32 vcc_lo, 0, v2
	s_and_b32 s56, vcc_lo, exec_lo
	s_delay_alu instid0(SALU_CYCLE_1)
	s_or_b32 s47, s47, s56
	s_mov_b32 s57, -1
	s_or_b32 s45, s45, exec_lo
	s_and_saveexec_b32 s56, s47
	s_cbranch_execz .LBB16_687
.LBB16_691:                             ;   in Loop: Header=BB16_688 Depth=4
	s_sleep 1
	s_trap 2
	ds_load_b64 v[2:3], v0
	s_wait_dscnt 0x0
	s_and_not1_b32 s45, s45, exec_lo
	v_cmp_ge_u64_e32 vcc_lo, v[2:3], v[14:15]
	s_or_not1_b32 s57, vcc_lo, exec_lo
	s_branch .LBB16_687
.LBB16_692:                             ;   in Loop: Header=BB16_545 Depth=3
	s_or_b32 exec_lo, exec_lo, s43
	s_and_saveexec_b32 s43, s44
	s_delay_alu instid0(SALU_CYCLE_1)
	s_xor_b32 s43, exec_lo, s43
	s_cbranch_execz .LBB16_694
; %bb.693:                              ;   in Loop: Header=BB16_545 Depth=3
	ds_store_b32 v0, v58
	s_trap 2
.LBB16_694:                             ;   in Loop: Header=BB16_545 Depth=3
	s_or_b32 exec_lo, exec_lo, s17
	;;#ASMSTART
	s_wakeup
	;;#ASMEND
.LBB16_695:                             ;   in Loop: Header=BB16_545 Depth=3
	s_or_b32 exec_lo, exec_lo, s16
.LBB16_696:                             ;   in Loop: Header=BB16_545 Depth=3
	s_and_not1_saveexec_b32 s15, s15
	s_cbranch_execz .LBB16_698
; %bb.697:                              ;   in Loop: Header=BB16_545 Depth=3
	global_wb scope:SCOPE_DEV
	s_wait_storecnt 0x0
	s_wait_loadcnt_dscnt 0x0
	global_inv scope:SCOPE_DEV
	s_barrier_signal -1
	s_barrier_wait -1
.LBB16_698:                             ;   in Loop: Header=BB16_545 Depth=3
	s_or_b32 exec_lo, exec_lo, s15
	s_delay_alu instid0(SALU_CYCLE_1) | instskip(SKIP_1) | instid1(SALU_CYCLE_1)
	s_or_b32 exec_lo, exec_lo, s14
                                        ; implicit-def: $vgpr2
	s_and_saveexec_b32 s14, s10
	s_xor_b32 s14, exec_lo, s14
	s_cbranch_execnz .LBB16_622
.LBB16_699:                             ;   in Loop: Header=BB16_545 Depth=3
	s_and_not1_saveexec_b32 s13, s14
	s_cbranch_execz .LBB16_718
.LBB16_700:                             ;   in Loop: Header=BB16_545 Depth=3
	s_and_saveexec_b32 s14, s2
	s_delay_alu instid0(SALU_CYCLE_1)
	s_xor_b32 s14, exec_lo, s14
	s_cbranch_execz .LBB16_715
; %bb.701:                              ;   in Loop: Header=BB16_545 Depth=3
	s_and_saveexec_b32 s15, s5
	s_cbranch_execz .LBB16_714
; %bb.702:                              ;   in Loop: Header=BB16_545 Depth=3
	s_mov_b32 s17, exec_lo
	s_mov_b32 s16, exec_lo
	v_mbcnt_lo_u32_b32 v2, s17, 0
	;;#ASMSTART
	s_waitcnt lgkmcnt(0) vmcnt(0)
	;;#ASMEND
	s_delay_alu instid0(VALU_DEP_1)
	v_cmpx_eq_u32_e32 0, v2
	s_cbranch_execz .LBB16_704
; %bb.703:                              ;   in Loop: Header=BB16_545 Depth=3
	s_bcnt1_i32_b32 s17, s17
	s_delay_alu instid0(SALU_CYCLE_1)
	v_mov_b32_e32 v48, s17
	s_wait_storecnt 0x0
	s_wait_loadcnt_dscnt 0x0
	ds_add_u64 v0, v[48:49]
	s_trap 2
.LBB16_704:                             ;   in Loop: Header=BB16_545 Depth=3
	s_or_b32 exec_lo, exec_lo, s16
	s_trap 2
	ds_load_b64 v[2:3], v0
	s_wait_dscnt 0x0
	v_add_nc_u64_e32 v[14:15], v[14:15], v[50:51]
	s_mov_b32 s16, exec_lo
	s_delay_alu instid0(VALU_DEP_1)
	v_cmpx_lt_u64_e64 v[2:3], v[14:15]
	s_cbranch_execz .LBB16_713
; %bb.705:                              ;   in Loop: Header=BB16_545 Depth=3
	s_mov_b32 s17, 0
	s_mov_b32 s45, 0
                                        ; implicit-def: $sgpr43
                                        ; implicit-def: $sgpr44
	s_branch .LBB16_707
.LBB16_706:                             ;   in Loop: Header=BB16_707 Depth=4
	s_or_b32 exec_lo, exec_lo, s47
	s_delay_alu instid0(SALU_CYCLE_1) | instskip(NEXT) | instid1(SALU_CYCLE_1)
	s_and_b32 s46, exec_lo, s56
	s_or_b32 s17, s46, s17
	s_and_not1_b32 s43, s43, exec_lo
	s_and_b32 s46, s44, exec_lo
	s_delay_alu instid0(SALU_CYCLE_1)
	s_or_b32 s43, s43, s46
	s_and_not1_b32 exec_lo, exec_lo, s17
	s_cbranch_execz .LBB16_711
.LBB16_707:                             ;   Parent Loop BB16_73 Depth=1
                                        ;     Parent Loop BB16_542 Depth=2
                                        ;       Parent Loop BB16_545 Depth=3
                                        ; =>      This Inner Loop Header: Depth=4
	s_add_co_i32 s45, s45, 1
	s_delay_alu instid0(SALU_CYCLE_1) | instskip(SKIP_1) | instid1(SALU_CYCLE_1)
	s_cmp_lg_u32 s45, 0x2710
	s_cselect_b32 s46, -1, 0
	s_and_b32 vcc_lo, exec_lo, s46
	s_cbranch_vccz .LBB16_709
; %bb.708:                              ;   in Loop: Header=BB16_707 Depth=4
	s_mov_b32 s56, -1
	s_or_b32 s44, s44, exec_lo
	s_and_saveexec_b32 s47, s46
	s_cbranch_execz .LBB16_706
	s_branch .LBB16_710
.LBB16_709:                             ;   in Loop: Header=BB16_707 Depth=4
	s_trap 2
	ds_load_b64 v[2:3], v0
	s_and_not1_b32 s46, s46, exec_lo
	s_mov_b32 s45, 0
	s_wait_storecnt 0x0
	s_wait_loadcnt_dscnt 0x0
	flat_load_b32 v2, v[2:3] scope:SCOPE_SYS
	s_wait_loadcnt_dscnt 0x0
	global_inv scope:SCOPE_SYS
	v_cmp_eq_u32_e32 vcc_lo, 0, v2
	s_and_b32 s47, vcc_lo, exec_lo
	s_delay_alu instid0(SALU_CYCLE_1)
	s_or_b32 s46, s46, s47
	s_mov_b32 s56, -1
	s_or_b32 s44, s44, exec_lo
	s_and_saveexec_b32 s47, s46
	s_cbranch_execz .LBB16_706
.LBB16_710:                             ;   in Loop: Header=BB16_707 Depth=4
	s_sleep 1
	s_trap 2
	ds_load_b64 v[2:3], v0
	s_wait_dscnt 0x0
	s_and_not1_b32 s44, s44, exec_lo
	v_cmp_ge_u64_e32 vcc_lo, v[2:3], v[14:15]
	s_or_not1_b32 s56, vcc_lo, exec_lo
	s_branch .LBB16_706
.LBB16_711:                             ;   in Loop: Header=BB16_545 Depth=3
	s_or_b32 exec_lo, exec_lo, s17
	s_and_saveexec_b32 s17, s43
	s_delay_alu instid0(SALU_CYCLE_1)
	s_xor_b32 s17, exec_lo, s17
	s_cbranch_execz .LBB16_713
; %bb.712:                              ;   in Loop: Header=BB16_545 Depth=3
	ds_store_b32 v0, v58
	s_trap 2
.LBB16_713:                             ;   in Loop: Header=BB16_545 Depth=3
	s_or_b32 exec_lo, exec_lo, s16
	;;#ASMSTART
	s_wakeup
	;;#ASMEND
.LBB16_714:                             ;   in Loop: Header=BB16_545 Depth=3
	s_or_b32 exec_lo, exec_lo, s15
.LBB16_715:                             ;   in Loop: Header=BB16_545 Depth=3
	s_and_not1_saveexec_b32 s14, s14
	s_cbranch_execz .LBB16_717
; %bb.716:                              ;   in Loop: Header=BB16_545 Depth=3
	;;#ASMSTART
	s_waitcnt lgkmcnt(0) vmcnt(0)
	;;#ASMEND
	s_barrier_signal -1
	s_barrier_wait -1
.LBB16_717:                             ;   in Loop: Header=BB16_545 Depth=3
	s_or_b32 exec_lo, exec_lo, s14
	v_and_b32_e32 v2, 16, v30
.LBB16_718:                             ;   in Loop: Header=BB16_545 Depth=3
	s_or_b32 exec_lo, exec_lo, s13
	s_delay_alu instid0(VALU_DEP_1) | instskip(SKIP_1) | instid1(SALU_CYCLE_1)
	v_cmp_ne_u32_e32 vcc_lo, 0, v2
	s_xor_b32 s13, s3, -1
	s_and_b32 s14, vcc_lo, s13
	s_delay_alu instid0(SALU_CYCLE_1)
	s_and_saveexec_b32 s13, s14
	s_cbranch_execz .LBB16_720
; %bb.719:                              ;   in Loop: Header=BB16_545 Depth=3
	global_wb scope:SCOPE_SYS
	s_wait_storecnt 0x0
	s_wait_loadcnt_dscnt 0x0
	flat_store_b32 v[34:35], v58 scope:SCOPE_SYS
.LBB16_720:                             ;   in Loop: Header=BB16_545 Depth=3
	s_wait_xcnt 0x0
	s_or_b32 exec_lo, exec_lo, s13
	v_and_b32_e32 v2, 48, v30
	s_mov_b32 s13, exec_lo
	s_delay_alu instid0(VALU_DEP_1)
	v_cmpx_ne_u32_e32 0, v2
	s_cbranch_execz .LBB16_544
; %bb.721:                              ;   in Loop: Header=BB16_545 Depth=3
	v_add_nc_u64_e32 v[98:99], 2, v[98:99]
	global_wb scope:SCOPE_SYS
	s_wait_storecnt 0x0
	s_wait_loadcnt_dscnt 0x0
	flat_store_b64 v[26:27], v[98:99] scope:SCOPE_SYS
	s_branch .LBB16_544
.LBB16_722:                             ;   in Loop: Header=BB16_542 Depth=2
	s_or_b32 exec_lo, exec_lo, s40
.LBB16_723:                             ;   in Loop: Header=BB16_542 Depth=2
	s_delay_alu instid0(SALU_CYCLE_1) | instskip(NEXT) | instid1(SALU_CYCLE_1)
	s_or_b32 exec_lo, exec_lo, s29
	s_mov_b32 s14, exec_lo
	v_cmpx_gt_i32_e32 2, v2
	s_cbranch_execz .LBB16_799
; %bb.724:                              ;   in Loop: Header=BB16_542 Depth=2
	v_cmp_eq_u32_e64 s16, 0, v2
	s_mov_b32 s15, 0
	s_branch .LBB16_726
.LBB16_725:                             ;   in Loop: Header=BB16_726 Depth=3
	s_wait_xcnt 0x0
	s_or_b32 exec_lo, exec_lo, s13
	v_add_nc_u32_e32 v102, v112, v102
	s_mov_b32 s16, 0
	s_and_not1_b32 exec_lo, exec_lo, s15
	s_cbranch_execz .LBB16_798
.LBB16_726:                             ;   Parent Loop BB16_73 Depth=1
                                        ;     Parent Loop BB16_542 Depth=2
                                        ; =>    This Loop Header: Depth=3
                                        ;         Child Loop BB16_732 Depth 4
                                        ;         Child Loop BB16_760 Depth 4
	;; [unrolled: 1-line block ×3, first 2 shown]
	s_delay_alu instid0(VALU_DEP_1) | instskip(SKIP_2) | instid1(VALU_DEP_2)
	v_sub_nc_u32_e32 v2, v63, v102
	v_and_b32_e32 v3, 12, v30
	s_mov_b32 s17, exec_lo
	v_min_i32_e32 v112, v112, v2
	s_delay_alu instid0(VALU_DEP_2)
	v_cmpx_ne_u32_e32 0, v3
	s_cbranch_execz .LBB16_752
; %bb.727:                              ;   in Loop: Header=BB16_726 Depth=3
	v_and_b32_e32 v48, 8, v30
	v_add_nc_u64_e32 v[2:3], 2, v[98:99]
	s_mov_b32 s29, exec_lo
	s_wait_loadcnt_dscnt 0x1
	s_delay_alu instid0(VALU_DEP_2) | instskip(NEXT) | instid1(VALU_DEP_1)
	v_add_nc_u64_e32 v[4:5], v[36:37], v[48:49]
	v_cmpx_lt_u64_e64 v[4:5], v[2:3]
	s_cbranch_execz .LBB16_739
; %bb.728:                              ;   in Loop: Header=BB16_726 Depth=3
	v_and_b32_e32 v4, 64, v30
	s_mov_b32 s40, 0
	s_mov_b32 s44, 0
                                        ; implicit-def: $sgpr41
                                        ; implicit-def: $sgpr42
                                        ; implicit-def: $sgpr43
	s_delay_alu instid0(VALU_DEP_1)
	v_cmp_eq_u32_e32 vcc_lo, 0, v4
	s_branch .LBB16_732
.LBB16_729:                             ;   in Loop: Header=BB16_732 Depth=4
	s_wait_loadcnt_dscnt 0x0
	v_add_nc_u64_e32 v[22:23], v[36:37], v[48:49]
	s_or_b32 s47, s47, exec_lo
	s_delay_alu instid0(VALU_DEP_1)
	v_cmp_ge_u64_e64 s13, v[22:23], v[2:3]
	s_or_not1_b32 s46, s13, exec_lo
.LBB16_730:                             ;   in Loop: Header=BB16_732 Depth=4
	s_or_b32 exec_lo, exec_lo, s57
	s_delay_alu instid0(SALU_CYCLE_1)
	s_and_not1_b32 s13, s43, exec_lo
	s_and_b32 s43, s47, exec_lo
	s_and_not1_b32 s42, s42, exec_lo
	s_and_b32 s46, s46, exec_lo
	s_or_b32 s43, s13, s43
	s_or_b32 s42, s42, s46
.LBB16_731:                             ;   in Loop: Header=BB16_732 Depth=4
	s_or_b32 exec_lo, exec_lo, s45
	s_delay_alu instid0(SALU_CYCLE_1) | instskip(NEXT) | instid1(SALU_CYCLE_1)
	s_and_b32 s13, exec_lo, s42
	s_or_b32 s40, s13, s40
	s_and_not1_b32 s13, s41, exec_lo
	s_and_b32 s41, s43, exec_lo
	s_delay_alu instid0(SALU_CYCLE_1)
	s_or_b32 s41, s13, s41
	s_and_not1_b32 exec_lo, exec_lo, s40
	s_cbranch_execz .LBB16_736
.LBB16_732:                             ;   Parent Loop BB16_73 Depth=1
                                        ;     Parent Loop BB16_542 Depth=2
                                        ;       Parent Loop BB16_726 Depth=3
                                        ; =>      This Inner Loop Header: Depth=4
	s_sleep 1
	s_wait_loadcnt_dscnt 0x0
	flat_load_b64 v[36:37], v[26:27] scope:SCOPE_SYS
	s_or_b32 s43, s43, exec_lo
	s_or_b32 s42, s42, exec_lo
                                        ; implicit-def: $vgpr4
	s_wait_xcnt 0x0
	s_and_saveexec_b32 s45, vcc_lo
	s_cbranch_execz .LBB16_731
; %bb.733:                              ;   in Loop: Header=BB16_732 Depth=4
	s_cmp_lt_i32 s44, 0x270f
	s_mov_b32 s46, -1
	s_cselect_b32 s56, -1, 0
	s_cmp_gt_i32 s44, 0x270e
	s_cbranch_scc0 .LBB16_735
; %bb.734:                              ;   in Loop: Header=BB16_732 Depth=4
	s_trap 2
	ds_load_b64 v[4:5], v0
	s_and_not1_b32 s44, s56, exec_lo
	s_mov_b32 s47, 0
	s_wait_storecnt 0x0
	s_wait_loadcnt_dscnt 0x0
	flat_load_b32 v4, v[4:5] scope:SCOPE_SYS
	s_wait_loadcnt_dscnt 0x0
	global_inv scope:SCOPE_SYS
	v_cmp_eq_u32_e64 s13, 0, v4
	s_and_b32 s13, s13, exec_lo
	s_delay_alu instid0(SALU_CYCLE_1)
	s_or_b32 s56, s44, s13
	s_mov_b32 s44, 0
	s_and_saveexec_b32 s57, s56
	s_cbranch_execz .LBB16_730
	s_branch .LBB16_729
.LBB16_735:                             ;   in Loop: Header=BB16_732 Depth=4
	s_add_co_i32 s44, s44, 1
	s_mov_b32 s47, -1
                                        ; implicit-def: $vgpr4
	s_and_saveexec_b32 s57, s56
	s_cbranch_execz .LBB16_730
	s_branch .LBB16_729
.LBB16_736:                             ;   in Loop: Header=BB16_726 Depth=3
	s_or_b32 exec_lo, exec_lo, s40
	s_xor_b32 s13, s41, -1
	s_delay_alu instid0(SALU_CYCLE_1) | instskip(NEXT) | instid1(SALU_CYCLE_1)
	s_and_saveexec_b32 s40, s13
	s_xor_b32 s13, exec_lo, s40
	s_cbranch_execz .LBB16_738
; %bb.737:                              ;   in Loop: Header=BB16_726 Depth=3
	v_or_b32_e32 v30, 64, v30
	s_wait_storecnt 0x0
	s_wait_loadcnt_dscnt 0x0
	ds_store_b32 v0, v4
	s_trap 2
.LBB16_738:                             ;   in Loop: Header=BB16_726 Depth=3
	s_or_b32 exec_lo, exec_lo, s13
.LBB16_739:                             ;   in Loop: Header=BB16_726 Depth=3
	s_delay_alu instid0(SALU_CYCLE_1) | instskip(SKIP_2) | instid1(VALU_DEP_1)
	s_or_b32 exec_lo, exec_lo, s29
	v_and_b32_e32 v4, 0x108, v30
	;;#ASMSTART
	s_wakeup
	;;#ASMEND
	v_cmp_ne_u32_e32 vcc_lo, 0x108, v4
                                        ; implicit-def: $vgpr4_vgpr5
	s_and_saveexec_b32 s13, vcc_lo
	s_delay_alu instid0(SALU_CYCLE_1)
	s_xor_b32 s13, exec_lo, s13
; %bb.740:                              ;   in Loop: Header=BB16_726 Depth=3
	v_dual_mov_b32 v5, v49 :: v_dual_bitop2_b32 v4, 7, v98 bitop3:0x40
                                        ; implicit-def: $vgpr98_vgpr99
; %bb.741:                              ;   in Loop: Header=BB16_726 Depth=3
	s_and_not1_saveexec_b32 s13, s13
	s_cbranch_execz .LBB16_743
; %bb.742:                              ;   in Loop: Header=BB16_726 Depth=3
	v_dual_ashrrev_i32 v113, 31, v112 :: v_dual_bitop2_b32 v4, 7, v98 bitop3:0x40
	v_mov_b32_e32 v5, v49
	s_delay_alu instid0(VALU_DEP_2)
	v_mad_nc_u64_u32 v[22:23], v4, 24, v[12:13]
	flat_store_b64 v[22:23], v[112:113] offset:8
.LBB16_743:                             ;   in Loop: Header=BB16_726 Depth=3
	s_wait_xcnt 0x0
	s_or_b32 exec_lo, exec_lo, s13
	v_and_b32_e32 v22, 0x100, v30
	s_mov_b32 s13, -1
	s_mov_b32 s29, exec_lo
                                        ; implicit-def: $vgpr98_vgpr99
	s_delay_alu instid0(VALU_DEP_1)
	v_cmpx_ne_u32_e32 0, v22
	s_cbranch_execz .LBB16_747
; %bb.744:                              ;   in Loop: Header=BB16_726 Depth=3
	v_mad_nc_u64_u32 v[114:115], v4, 24, v[12:13]
	s_mov_b32 s40, exec_lo
                                        ; implicit-def: $vgpr98_vgpr99
	s_delay_alu instid0(VALU_DEP_1)
	v_mad_u32 v115, v5, 24, v115
	flat_load_b32 v22, v[114:115]
	s_wait_loadcnt_dscnt 0x0
	v_cmp_ne_u32_e32 vcc_lo, 1, v22
	s_wait_xcnt 0x0
	v_cmpx_eq_u32_e32 1, v22
	s_cbranch_execz .LBB16_746
; %bb.745:                              ;   in Loop: Header=BB16_726 Depth=3
	flat_load_b32 v98, v[114:115] offset:4 scope:SCOPE_SYS
	s_wait_loadcnt_dscnt 0x0
	v_ashrrev_i32_e32 v99, 31, v98
.LBB16_746:                             ;   in Loop: Header=BB16_726 Depth=3
	s_wait_xcnt 0x0
	s_or_b32 exec_lo, exec_lo, s40
	s_delay_alu instid0(SALU_CYCLE_1)
	s_or_not1_b32 s13, vcc_lo, exec_lo
.LBB16_747:                             ;   in Loop: Header=BB16_726 Depth=3
	s_or_b32 exec_lo, exec_lo, s29
	s_and_saveexec_b32 s29, s13
; %bb.748:                              ;   in Loop: Header=BB16_726 Depth=3
	v_mul_u64_e32 v[98:99], v[4:5], v[28:29]
; %bb.749:                              ;   in Loop: Header=BB16_726 Depth=3
	s_or_b32 exec_lo, exec_lo, s29
	v_cmp_eq_u32_e32 vcc_lo, 0, v48
	s_delay_alu instid0(VALU_DEP_2) | instskip(SKIP_3) | instid1(VALU_DEP_1)
	v_add_nc_u64_e32 v[4:5], v[32:33], v[98:99]
	v_and_b32_e32 v23, 0x2000, v30
	s_mov_b32 s13, exec_lo
	v_cndmask_b32_e32 v22, 0xd0, v59, vcc_lo
	v_add_nc_u32_e32 v22, v0, v22
	ds_store_b64 v22, v[4:5] offset:584
	v_cmpx_ne_u32_e32 0, v23
	s_cbranch_execz .LBB16_751
; %bb.750:                              ;   in Loop: Header=BB16_726 Depth=3
	ds_load_b64 v[4:5], v0 offset:872
	s_wait_dscnt 0x0
	v_add_nc_u64_e32 v[4:5], 1, v[4:5]
	ds_store_b64 v0, v[4:5] offset:872
.LBB16_751:                             ;   in Loop: Header=BB16_726 Depth=3
	s_or_b32 exec_lo, exec_lo, s13
	v_mov_b64_e32 v[98:99], v[2:3]
.LBB16_752:                             ;   in Loop: Header=BB16_726 Depth=3
	s_or_b32 exec_lo, exec_lo, s17
	s_xor_b32 s13, s16, -1
	s_delay_alu instid0(SALU_CYCLE_1) | instskip(NEXT) | instid1(SALU_CYCLE_1)
	s_and_b32 s13, exec_lo, s13
	s_or_b32 s15, s13, s15
	s_and_saveexec_b32 s13, s1
	s_cbranch_execz .LBB16_771
; %bb.753:                              ;   in Loop: Header=BB16_726 Depth=3
	s_and_saveexec_b32 s16, s2
	s_delay_alu instid0(SALU_CYCLE_1)
	s_xor_b32 s16, exec_lo, s16
	s_cbranch_execz .LBB16_768
; %bb.754:                              ;   in Loop: Header=BB16_726 Depth=3
	s_and_saveexec_b32 s17, s5
	s_cbranch_execz .LBB16_767
; %bb.755:                              ;   in Loop: Header=BB16_726 Depth=3
	s_mov_b32 s40, exec_lo
	s_mov_b32 s29, exec_lo
	v_mbcnt_lo_u32_b32 v2, s40, 0
	global_wb scope:SCOPE_DEV
	s_wait_storecnt 0x0
	s_wait_loadcnt_dscnt 0x0
	global_inv scope:SCOPE_DEV
	v_cmpx_eq_u32_e32 0, v2
	s_cbranch_execz .LBB16_757
; %bb.756:                              ;   in Loop: Header=BB16_726 Depth=3
	s_bcnt1_i32_b32 s40, s40
	s_delay_alu instid0(SALU_CYCLE_1)
	v_mov_b32_e32 v48, s40
	s_wait_loadcnt 0x0
	ds_add_u64 v0, v[48:49]
	s_trap 2
.LBB16_757:                             ;   in Loop: Header=BB16_726 Depth=3
	s_or_b32 exec_lo, exec_lo, s29
	s_trap 2
	ds_load_b64 v[2:3], v0
	s_wait_dscnt 0x0
	v_add_nc_u64_e32 v[14:15], v[14:15], v[50:51]
	s_mov_b32 s29, exec_lo
	s_delay_alu instid0(VALU_DEP_1)
	v_cmpx_lt_u64_e64 v[2:3], v[14:15]
	s_cbranch_execz .LBB16_766
; %bb.758:                              ;   in Loop: Header=BB16_726 Depth=3
	s_mov_b32 s40, 0
	s_mov_b32 s43, 0
                                        ; implicit-def: $sgpr41
                                        ; implicit-def: $sgpr42
	s_branch .LBB16_760
.LBB16_759:                             ;   in Loop: Header=BB16_760 Depth=4
	s_or_b32 exec_lo, exec_lo, s45
	s_delay_alu instid0(SALU_CYCLE_1) | instskip(NEXT) | instid1(SALU_CYCLE_1)
	s_and_b32 s44, exec_lo, s46
	s_or_b32 s40, s44, s40
	s_and_not1_b32 s41, s41, exec_lo
	s_and_b32 s44, s42, exec_lo
	s_delay_alu instid0(SALU_CYCLE_1)
	s_or_b32 s41, s41, s44
	s_and_not1_b32 exec_lo, exec_lo, s40
	s_cbranch_execz .LBB16_764
.LBB16_760:                             ;   Parent Loop BB16_73 Depth=1
                                        ;     Parent Loop BB16_542 Depth=2
                                        ;       Parent Loop BB16_726 Depth=3
                                        ; =>      This Inner Loop Header: Depth=4
	s_add_co_i32 s43, s43, 1
	s_delay_alu instid0(SALU_CYCLE_1) | instskip(SKIP_1) | instid1(SALU_CYCLE_1)
	s_cmp_lg_u32 s43, 0x2710
	s_cselect_b32 s44, -1, 0
	s_and_b32 vcc_lo, exec_lo, s44
	s_cbranch_vccz .LBB16_762
; %bb.761:                              ;   in Loop: Header=BB16_760 Depth=4
	s_mov_b32 s46, -1
	s_or_b32 s42, s42, exec_lo
	s_and_saveexec_b32 s45, s44
	s_cbranch_execz .LBB16_759
	s_branch .LBB16_763
.LBB16_762:                             ;   in Loop: Header=BB16_760 Depth=4
	s_trap 2
	ds_load_b64 v[2:3], v0
	s_and_not1_b32 s44, s44, exec_lo
	s_mov_b32 s43, 0
	s_wait_loadcnt_dscnt 0x0
	flat_load_b32 v2, v[2:3] scope:SCOPE_SYS
	s_wait_loadcnt_dscnt 0x0
	global_inv scope:SCOPE_SYS
	v_cmp_eq_u32_e32 vcc_lo, 0, v2
	s_and_b32 s45, vcc_lo, exec_lo
	s_delay_alu instid0(SALU_CYCLE_1)
	s_or_b32 s44, s44, s45
	s_mov_b32 s46, -1
	s_or_b32 s42, s42, exec_lo
	s_and_saveexec_b32 s45, s44
	s_cbranch_execz .LBB16_759
.LBB16_763:                             ;   in Loop: Header=BB16_760 Depth=4
	s_sleep 1
	s_trap 2
	ds_load_b64 v[2:3], v0
	s_wait_dscnt 0x0
	s_and_not1_b32 s42, s42, exec_lo
	v_cmp_ge_u64_e32 vcc_lo, v[2:3], v[14:15]
	s_or_not1_b32 s46, vcc_lo, exec_lo
	s_branch .LBB16_759
.LBB16_764:                             ;   in Loop: Header=BB16_726 Depth=3
	s_or_b32 exec_lo, exec_lo, s40
	s_and_saveexec_b32 s40, s41
	s_delay_alu instid0(SALU_CYCLE_1)
	s_xor_b32 s40, exec_lo, s40
	s_cbranch_execz .LBB16_766
; %bb.765:                              ;   in Loop: Header=BB16_726 Depth=3
	ds_store_b32 v0, v58
	s_trap 2
.LBB16_766:                             ;   in Loop: Header=BB16_726 Depth=3
	s_or_b32 exec_lo, exec_lo, s29
	;;#ASMSTART
	s_wakeup
	;;#ASMEND
.LBB16_767:                             ;   in Loop: Header=BB16_726 Depth=3
	s_or_b32 exec_lo, exec_lo, s17
.LBB16_768:                             ;   in Loop: Header=BB16_726 Depth=3
	s_and_not1_saveexec_b32 s16, s16
	s_cbranch_execz .LBB16_770
; %bb.769:                              ;   in Loop: Header=BB16_726 Depth=3
	global_wb scope:SCOPE_DEV
	s_wait_storecnt 0x0
	s_wait_loadcnt_dscnt 0x0
	global_inv scope:SCOPE_DEV
	s_barrier_signal -1
	s_barrier_wait -1
.LBB16_770:                             ;   in Loop: Header=BB16_726 Depth=3
	s_or_b32 exec_lo, exec_lo, s16
.LBB16_771:                             ;   in Loop: Header=BB16_726 Depth=3
	s_delay_alu instid0(SALU_CYCLE_1) | instskip(SKIP_1) | instid1(SALU_CYCLE_1)
	s_or_b32 exec_lo, exec_lo, s13
                                        ; implicit-def: $vgpr2
	s_and_saveexec_b32 s13, s26
	s_xor_b32 s13, exec_lo, s13
	s_cbranch_execz .LBB16_783
; %bb.772:                              ;   in Loop: Header=BB16_726 Depth=3
	s_and_saveexec_b32 s16, s2
	s_delay_alu instid0(SALU_CYCLE_1)
	s_xor_b32 s16, exec_lo, s16
	s_cbranch_execz .LBB16_788
; %bb.773:                              ;   in Loop: Header=BB16_726 Depth=3
	s_and_saveexec_b32 s17, s5
	s_cbranch_execz .LBB16_787
; %bb.774:                              ;   in Loop: Header=BB16_726 Depth=3
	s_mov_b32 s40, exec_lo
	s_mov_b32 s29, exec_lo
	v_mbcnt_lo_u32_b32 v2, s40, 0
	;;#ASMSTART
	s_waitcnt lgkmcnt(0) vmcnt(0)
	;;#ASMEND
	s_delay_alu instid0(VALU_DEP_1)
	v_cmpx_eq_u32_e32 0, v2
	s_cbranch_execz .LBB16_776
; %bb.775:                              ;   in Loop: Header=BB16_726 Depth=3
	s_bcnt1_i32_b32 s40, s40
	s_delay_alu instid0(SALU_CYCLE_1)
	v_mov_b32_e32 v48, s40
	s_wait_storecnt 0x0
	s_wait_loadcnt_dscnt 0x0
	ds_add_u64 v0, v[48:49]
	s_trap 2
.LBB16_776:                             ;   in Loop: Header=BB16_726 Depth=3
	s_or_b32 exec_lo, exec_lo, s29
	s_trap 2
	ds_load_b64 v[2:3], v0
	s_wait_dscnt 0x0
	v_add_nc_u64_e32 v[14:15], v[14:15], v[50:51]
	s_mov_b32 s29, exec_lo
	s_delay_alu instid0(VALU_DEP_1)
	v_cmpx_lt_u64_e64 v[2:3], v[14:15]
	s_cbranch_execz .LBB16_786
; %bb.777:                              ;   in Loop: Header=BB16_726 Depth=3
	s_mov_b32 s40, 0
	s_mov_b32 s43, 0
                                        ; implicit-def: $sgpr41
                                        ; implicit-def: $sgpr42
	s_branch .LBB16_779
.LBB16_778:                             ;   in Loop: Header=BB16_779 Depth=4
	s_or_b32 exec_lo, exec_lo, s45
	s_delay_alu instid0(SALU_CYCLE_1) | instskip(NEXT) | instid1(SALU_CYCLE_1)
	s_and_b32 s44, exec_lo, s46
	s_or_b32 s40, s44, s40
	s_and_not1_b32 s41, s41, exec_lo
	s_and_b32 s44, s42, exec_lo
	s_delay_alu instid0(SALU_CYCLE_1)
	s_or_b32 s41, s41, s44
	s_and_not1_b32 exec_lo, exec_lo, s40
	s_cbranch_execz .LBB16_784
.LBB16_779:                             ;   Parent Loop BB16_73 Depth=1
                                        ;     Parent Loop BB16_542 Depth=2
                                        ;       Parent Loop BB16_726 Depth=3
                                        ; =>      This Inner Loop Header: Depth=4
	s_add_co_i32 s43, s43, 1
	s_delay_alu instid0(SALU_CYCLE_1) | instskip(SKIP_1) | instid1(SALU_CYCLE_1)
	s_cmp_lg_u32 s43, 0x2710
	s_cselect_b32 s44, -1, 0
	s_and_b32 vcc_lo, exec_lo, s44
	s_cbranch_vccz .LBB16_781
; %bb.780:                              ;   in Loop: Header=BB16_779 Depth=4
	s_mov_b32 s46, -1
	s_or_b32 s42, s42, exec_lo
	s_and_saveexec_b32 s45, s44
	s_cbranch_execz .LBB16_778
	s_branch .LBB16_782
.LBB16_781:                             ;   in Loop: Header=BB16_779 Depth=4
	s_trap 2
	ds_load_b64 v[2:3], v0
	s_and_not1_b32 s44, s44, exec_lo
	s_mov_b32 s43, 0
	s_wait_storecnt 0x0
	s_wait_loadcnt_dscnt 0x0
	flat_load_b32 v2, v[2:3] scope:SCOPE_SYS
	s_wait_loadcnt_dscnt 0x0
	global_inv scope:SCOPE_SYS
	v_cmp_eq_u32_e32 vcc_lo, 0, v2
	s_and_b32 s45, vcc_lo, exec_lo
	s_delay_alu instid0(SALU_CYCLE_1)
	s_or_b32 s44, s44, s45
	s_mov_b32 s46, -1
	s_or_b32 s42, s42, exec_lo
	s_and_saveexec_b32 s45, s44
	s_cbranch_execz .LBB16_778
.LBB16_782:                             ;   in Loop: Header=BB16_779 Depth=4
	s_sleep 1
	s_trap 2
	ds_load_b64 v[2:3], v0
	s_wait_dscnt 0x0
	s_and_not1_b32 s42, s42, exec_lo
	v_cmp_ge_u64_e32 vcc_lo, v[2:3], v[14:15]
	s_or_not1_b32 s46, vcc_lo, exec_lo
	s_branch .LBB16_778
.LBB16_783:                             ;   in Loop: Header=BB16_726 Depth=3
	s_and_not1_saveexec_b32 s16, s13
	s_cbranch_execnz .LBB16_791
	s_branch .LBB16_794
.LBB16_784:                             ;   in Loop: Header=BB16_726 Depth=3
	s_or_b32 exec_lo, exec_lo, s40
	s_and_saveexec_b32 s40, s41
	s_delay_alu instid0(SALU_CYCLE_1)
	s_xor_b32 s40, exec_lo, s40
	s_cbranch_execz .LBB16_786
; %bb.785:                              ;   in Loop: Header=BB16_726 Depth=3
	ds_store_b32 v0, v58
	s_trap 2
.LBB16_786:                             ;   in Loop: Header=BB16_726 Depth=3
	s_or_b32 exec_lo, exec_lo, s29
	;;#ASMSTART
	s_wakeup
	;;#ASMEND
.LBB16_787:                             ;   in Loop: Header=BB16_726 Depth=3
	s_or_b32 exec_lo, exec_lo, s17
.LBB16_788:                             ;   in Loop: Header=BB16_726 Depth=3
	s_and_not1_saveexec_b32 s16, s16
	s_cbranch_execz .LBB16_790
; %bb.789:                              ;   in Loop: Header=BB16_726 Depth=3
	;;#ASMSTART
	s_waitcnt lgkmcnt(0) vmcnt(0)
	;;#ASMEND
	s_barrier_signal -1
	s_barrier_wait -1
.LBB16_790:                             ;   in Loop: Header=BB16_726 Depth=3
	s_or_b32 exec_lo, exec_lo, s16
	v_and_b32_e32 v2, 16, v30
	s_and_not1_saveexec_b32 s16, s13
	s_cbranch_execz .LBB16_794
.LBB16_791:                             ;   in Loop: Header=BB16_726 Depth=3
	s_trap 2
	ds_load_b32 v2, v0
	v_cmp_lt_i32_e32 vcc_lo, 0, v112
	s_wait_dscnt 0x0
	v_readfirstlane_b32 s13, v2
	v_and_b32_e32 v2, 16, v30
	s_cmp_eq_u32 s13, 0
	s_delay_alu instid0(VALU_DEP_1) | instskip(SKIP_3) | instid1(SALU_CYCLE_1)
	v_cmp_ne_u32_e64 s13, 0, v2
	s_cselect_b32 s17, -1, 0
	v_and_b32_e32 v2, 16, v30
	s_and_b32 s17, vcc_lo, s17
	s_and_b32 s17, s13, s17
	s_delay_alu instid0(SALU_CYCLE_1)
	s_and_saveexec_b32 s13, s17
	s_cbranch_execz .LBB16_793
; %bb.792:                              ;   in Loop: Header=BB16_726 Depth=3
	v_mov_b32_e32 v2, 1
	global_wb scope:SCOPE_SYS
	s_wait_loadcnt 0x0
	s_wait_storecnt 0x0
	global_inv scope:SCOPE_SYS
.LBB16_793:                             ;   in Loop: Header=BB16_726 Depth=3
	s_or_b32 exec_lo, exec_lo, s13
.LBB16_794:                             ;   in Loop: Header=BB16_726 Depth=3
	s_delay_alu instid0(SALU_CYCLE_1) | instskip(NEXT) | instid1(VALU_DEP_1)
	s_or_b32 exec_lo, exec_lo, s16
	v_cmp_ne_u32_e32 vcc_lo, 0, v2
	s_xor_b32 s13, s3, -1
	s_delay_alu instid0(SALU_CYCLE_1) | instskip(NEXT) | instid1(SALU_CYCLE_1)
	s_and_b32 s16, vcc_lo, s13
	s_and_saveexec_b32 s13, s16
	s_cbranch_execz .LBB16_796
; %bb.795:                              ;   in Loop: Header=BB16_726 Depth=3
	global_wb scope:SCOPE_SYS
	s_wait_storecnt 0x0
	s_wait_loadcnt_dscnt 0x0
	flat_store_b32 v[34:35], v58 scope:SCOPE_SYS
.LBB16_796:                             ;   in Loop: Header=BB16_726 Depth=3
	s_wait_xcnt 0x0
	s_or_b32 exec_lo, exec_lo, s13
	v_and_b32_e32 v2, 48, v30
	s_mov_b32 s13, exec_lo
	s_delay_alu instid0(VALU_DEP_1)
	v_cmpx_ne_u32_e32 0, v2
	s_cbranch_execz .LBB16_725
; %bb.797:                              ;   in Loop: Header=BB16_726 Depth=3
	v_add_nc_u64_e32 v[98:99], 2, v[98:99]
	global_wb scope:SCOPE_SYS
	s_wait_storecnt 0x0
	s_wait_loadcnt_dscnt 0x0
	flat_store_b64 v[26:27], v[98:99] scope:SCOPE_SYS
	s_branch .LBB16_725
.LBB16_798:                             ;   in Loop: Header=BB16_542 Depth=2
	s_or_b32 exec_lo, exec_lo, s15
.LBB16_799:                             ;   in Loop: Header=BB16_542 Depth=2
	s_delay_alu instid0(SALU_CYCLE_1)
	s_or_b32 exec_lo, exec_lo, s14
	s_add_co_i32 s13, s28, 1
	s_cmp_eq_u32 s28, s25
	s_cbranch_scc1 .LBB16_801
; %bb.800:                              ;   in Loop: Header=BB16_542 Depth=2
	s_mov_b32 s28, s13
	s_branch .LBB16_542
.LBB16_801:                             ;   in Loop: Header=BB16_73 Depth=1
	v_dual_mov_b32 v3, 0 :: v_dual_mov_b32 v2, 0
	s_and_saveexec_b32 s13, s12
	s_cbranch_execz .LBB16_941
; %bb.802:                              ;   in Loop: Header=BB16_73 Depth=1
	flat_load_b32 v2, v[18:19] offset:4
	s_mov_b32 s16, 1
	s_mov_b32 s15, -1
	s_mov_b32 s14, 0
	s_wait_loadcnt_dscnt 0x0
	v_mad_nc_u64_u32 v[4:5], v20, v2, v[100:101]
	s_delay_alu instid0(VALU_DEP_1) | instskip(SKIP_1) | instid1(VALU_DEP_1)
	v_mad_u32 v3, v21, v2, v5
	v_ashrrev_i32_e32 v2, 31, v2
	v_mad_u32 v5, v20, v2, v3
	v_mov_b32_e32 v2, 0
	s_branch .LBB16_804
.LBB16_803:                             ;   in Loop: Header=BB16_804 Depth=2
	s_wait_xcnt 0x0
	s_or_b32 exec_lo, exec_lo, s12
	v_dual_mov_b32 v3, s16 :: v_dual_add_nc_u32 v2, v72, v2
	s_xor_b32 s12, s15, -1
	s_mov_b32 s15, 0
	s_mov_b32 s16, 2
	s_delay_alu instid0(VALU_DEP_1) | instskip(SKIP_1) | instid1(SALU_CYCLE_1)
	v_cmp_ge_i32_e32 vcc_lo, v2, v63
	s_or_b32 s12, s12, vcc_lo
	s_and_b32 s12, exec_lo, s12
	s_delay_alu instid0(SALU_CYCLE_1) | instskip(NEXT) | instid1(SALU_CYCLE_1)
	s_or_b32 s14, s12, s14
	s_and_not1_b32 exec_lo, exec_lo, s14
	s_cbranch_execz .LBB16_940
.LBB16_804:                             ;   Parent Loop BB16_73 Depth=1
                                        ; =>  This Loop Header: Depth=2
                                        ;       Child Loop BB16_812 Depth 3
                                        ;       Child Loop BB16_836 Depth 3
	;; [unrolled: 1-line block ×9, first 2 shown]
	s_wait_xcnt 0x0
	s_and_saveexec_b32 s12, s0
	s_cbranch_execz .LBB16_806
; %bb.805:                              ;   in Loop: Header=BB16_804 Depth=2
	s_trap 2
	ds_load_b128 v[22:25], v0
	s_wait_dscnt 0x0
	v_add_nc_u64_e32 v[100:101], v[24:25], v[4:5]
	v_cmp_ne_u64_e32 vcc_lo, 0, v[24:25]
	v_ashrrev_i32_e32 v3, 31, v2
	v_add_nc_u64_e32 v[22:23], v[22:23], v[4:5]
	s_delay_alu instid0(VALU_DEP_2) | instskip(NEXT) | instid1(VALU_DEP_1)
	v_add_nc_u64_e32 v[100:101], v[100:101], v[2:3]
	v_cndmask_b32_e32 v25, 0, v101, vcc_lo
	s_delay_alu instid0(VALU_DEP_3) | instskip(NEXT) | instid1(VALU_DEP_3)
	v_add_nc_u64_e32 v[22:23], v[22:23], v[2:3]
	v_cndmask_b32_e32 v24, 0, v100, vcc_lo
	ds_store_b64 v0, v[22:23]
	ds_store_b64 v0, v[24:25]
.LBB16_806:                             ;   in Loop: Header=BB16_804 Depth=2
	s_or_b32 exec_lo, exec_lo, s12
	v_and_b32_e32 v3, 4, v30
	s_mov_b32 s17, exec_lo
	s_delay_alu instid0(VALU_DEP_1)
	v_cmpx_ne_u32_e32 0, v3
	s_cbranch_execz .LBB16_828
; %bb.807:                              ;   in Loop: Header=BB16_804 Depth=2
	v_add_nc_u64_e32 v[100:101], 2, v[98:99]
	s_mov_b32 s28, exec_lo
	s_wait_loadcnt 0x0
	s_delay_alu instid0(VALU_DEP_1)
	v_cmpx_lt_u64_e64 v[36:37], v[100:101]
	s_cbranch_execz .LBB16_819
; %bb.808:                              ;   in Loop: Header=BB16_804 Depth=2
	v_and_b32_e32 v3, 64, v30
	s_mov_b32 s29, 0
	s_mov_b32 s43, 0
                                        ; implicit-def: $sgpr40
                                        ; implicit-def: $sgpr41
                                        ; implicit-def: $sgpr42
	s_delay_alu instid0(VALU_DEP_1)
	v_cmp_eq_u32_e32 vcc_lo, 0, v3
	s_branch .LBB16_812
.LBB16_809:                             ;   in Loop: Header=BB16_812 Depth=3
	s_wait_loadcnt_dscnt 0x0
	v_cmp_ge_u64_e64 s12, v[36:37], v[100:101]
	s_or_b32 s46, s46, exec_lo
	s_or_not1_b32 s45, s12, exec_lo
.LBB16_810:                             ;   in Loop: Header=BB16_812 Depth=3
	s_or_b32 exec_lo, exec_lo, s56
	s_delay_alu instid0(SALU_CYCLE_1)
	s_and_not1_b32 s12, s42, exec_lo
	s_and_b32 s42, s46, exec_lo
	s_and_not1_b32 s41, s41, exec_lo
	s_and_b32 s45, s45, exec_lo
	s_or_b32 s42, s12, s42
	s_or_b32 s41, s41, s45
.LBB16_811:                             ;   in Loop: Header=BB16_812 Depth=3
	s_or_b32 exec_lo, exec_lo, s44
	s_delay_alu instid0(SALU_CYCLE_1) | instskip(NEXT) | instid1(SALU_CYCLE_1)
	s_and_b32 s12, exec_lo, s41
	s_or_b32 s29, s12, s29
	s_and_not1_b32 s12, s40, exec_lo
	s_and_b32 s40, s42, exec_lo
	s_delay_alu instid0(SALU_CYCLE_1)
	s_or_b32 s40, s12, s40
	s_and_not1_b32 exec_lo, exec_lo, s29
	s_cbranch_execz .LBB16_816
.LBB16_812:                             ;   Parent Loop BB16_73 Depth=1
                                        ;     Parent Loop BB16_804 Depth=2
                                        ; =>    This Inner Loop Header: Depth=3
	s_sleep 1
	s_wait_loadcnt_dscnt 0x0
	flat_load_b64 v[36:37], v[26:27] scope:SCOPE_SYS
	s_or_b32 s42, s42, exec_lo
	s_or_b32 s41, s41, exec_lo
                                        ; implicit-def: $vgpr3
	s_wait_xcnt 0x0
	s_and_saveexec_b32 s44, vcc_lo
	s_cbranch_execz .LBB16_811
; %bb.813:                              ;   in Loop: Header=BB16_812 Depth=3
	s_cmp_lt_i32 s43, 0x270f
	s_mov_b32 s45, -1
	s_cselect_b32 s47, -1, 0
	s_cmp_gt_i32 s43, 0x270e
	s_cbranch_scc0 .LBB16_815
; %bb.814:                              ;   in Loop: Header=BB16_812 Depth=3
	s_trap 2
	ds_load_b64 v[22:23], v0
	s_and_not1_b32 s43, s47, exec_lo
	s_mov_b32 s46, 0
	s_wait_storecnt 0x0
	s_wait_loadcnt_dscnt 0x0
	flat_load_b32 v3, v[22:23] scope:SCOPE_SYS
	s_wait_loadcnt_dscnt 0x0
	global_inv scope:SCOPE_SYS
	v_cmp_eq_u32_e64 s12, 0, v3
	s_and_b32 s12, s12, exec_lo
	s_delay_alu instid0(SALU_CYCLE_1)
	s_or_b32 s47, s43, s12
	s_mov_b32 s43, 0
	s_and_saveexec_b32 s56, s47
	s_cbranch_execz .LBB16_810
	s_branch .LBB16_809
.LBB16_815:                             ;   in Loop: Header=BB16_812 Depth=3
	s_add_co_i32 s43, s43, 1
	s_mov_b32 s46, -1
                                        ; implicit-def: $vgpr3
	s_and_saveexec_b32 s56, s47
	s_cbranch_execz .LBB16_810
	s_branch .LBB16_809
.LBB16_816:                             ;   in Loop: Header=BB16_804 Depth=2
	s_or_b32 exec_lo, exec_lo, s29
	s_xor_b32 s12, s40, -1
	s_delay_alu instid0(SALU_CYCLE_1) | instskip(NEXT) | instid1(SALU_CYCLE_1)
	s_and_saveexec_b32 s29, s12
	s_xor_b32 s12, exec_lo, s29
	s_cbranch_execz .LBB16_818
; %bb.817:                              ;   in Loop: Header=BB16_804 Depth=2
	v_or_b32_e32 v30, 64, v30
	s_wait_storecnt 0x0
	s_wait_loadcnt_dscnt 0x0
	ds_store_b32 v0, v3
	s_trap 2
.LBB16_818:                             ;   in Loop: Header=BB16_804 Depth=2
	s_or_b32 exec_lo, exec_lo, s12
.LBB16_819:                             ;   in Loop: Header=BB16_804 Depth=2
	s_delay_alu instid0(SALU_CYCLE_1)
	s_or_b32 exec_lo, exec_lo, s28
	v_and_b32_e32 v3, 0x100, v30
	v_and_b32_e32 v48, 7, v98
	s_mov_b32 s12, -1
	s_mov_b32 s28, exec_lo
	;;#ASMSTART
	s_wakeup
	;;#ASMEND
                                        ; implicit-def: $vgpr98_vgpr99
	v_cmpx_ne_u32_e32 0, v3
	s_cbranch_execz .LBB16_823
; %bb.820:                              ;   in Loop: Header=BB16_804 Depth=2
	v_mad_nc_u64_u32 v[102:103], v48, 24, v[12:13]
	s_mov_b32 s29, exec_lo
                                        ; implicit-def: $vgpr98_vgpr99
	flat_load_b32 v3, v[102:103]
	s_wait_loadcnt_dscnt 0x0
	v_cmp_ne_u32_e32 vcc_lo, 1, v3
	s_wait_xcnt 0x0
	v_cmpx_eq_u32_e32 1, v3
	s_cbranch_execz .LBB16_822
; %bb.821:                              ;   in Loop: Header=BB16_804 Depth=2
	flat_load_b32 v98, v[102:103] offset:4 scope:SCOPE_SYS
	s_wait_loadcnt_dscnt 0x0
	v_ashrrev_i32_e32 v99, 31, v98
.LBB16_822:                             ;   in Loop: Header=BB16_804 Depth=2
	s_wait_xcnt 0x0
	s_or_b32 exec_lo, exec_lo, s29
	s_delay_alu instid0(SALU_CYCLE_1)
	s_or_not1_b32 s12, vcc_lo, exec_lo
.LBB16_823:                             ;   in Loop: Header=BB16_804 Depth=2
	s_or_b32 exec_lo, exec_lo, s28
	s_and_saveexec_b32 s28, s12
; %bb.824:                              ;   in Loop: Header=BB16_804 Depth=2
	v_mul_u64_e32 v[98:99], v[48:49], v[28:29]
; %bb.825:                              ;   in Loop: Header=BB16_804 Depth=2
	s_or_b32 exec_lo, exec_lo, s28
	s_delay_alu instid0(VALU_DEP_1)
	v_add_nc_u64_e32 v[22:23], v[32:33], v[98:99]
	v_and_b32_e32 v3, 0x2000, v30
	s_mov_b32 s12, exec_lo
	ds_store_b64 v0, v[22:23] offset:720
	v_cmpx_ne_u32_e32 0, v3
	s_cbranch_execz .LBB16_827
; %bb.826:                              ;   in Loop: Header=BB16_804 Depth=2
	ds_load_b64 v[22:23], v0 offset:872
	s_wait_dscnt 0x0
	v_add_nc_u64_e32 v[22:23], 1, v[22:23]
	ds_store_b64 v0, v[22:23] offset:872
.LBB16_827:                             ;   in Loop: Header=BB16_804 Depth=2
	s_or_b32 exec_lo, exec_lo, s12
	v_mov_b64_e32 v[98:99], v[100:101]
.LBB16_828:                             ;   in Loop: Header=BB16_804 Depth=2
	s_or_b32 exec_lo, exec_lo, s17
	s_and_saveexec_b32 s12, s1
	s_cbranch_execz .LBB16_847
; %bb.829:                              ;   in Loop: Header=BB16_804 Depth=2
	s_and_saveexec_b32 s17, s2
	s_delay_alu instid0(SALU_CYCLE_1)
	s_xor_b32 s17, exec_lo, s17
	s_cbranch_execz .LBB16_844
; %bb.830:                              ;   in Loop: Header=BB16_804 Depth=2
	s_and_saveexec_b32 s28, s5
	s_cbranch_execz .LBB16_843
; %bb.831:                              ;   in Loop: Header=BB16_804 Depth=2
	s_mov_b32 s40, exec_lo
	s_mov_b32 s29, exec_lo
	v_mbcnt_lo_u32_b32 v3, s40, 0
	global_wb scope:SCOPE_DEV
	s_wait_storecnt 0x0
	s_wait_loadcnt_dscnt 0x0
	global_inv scope:SCOPE_DEV
	v_cmpx_eq_u32_e32 0, v3
	s_cbranch_execz .LBB16_833
; %bb.832:                              ;   in Loop: Header=BB16_804 Depth=2
	s_bcnt1_i32_b32 s40, s40
	s_delay_alu instid0(SALU_CYCLE_1)
	v_mov_b32_e32 v48, s40
	s_wait_loadcnt 0x0
	ds_add_u64 v0, v[48:49]
	s_trap 2
.LBB16_833:                             ;   in Loop: Header=BB16_804 Depth=2
	s_or_b32 exec_lo, exec_lo, s29
	s_trap 2
	ds_load_b64 v[22:23], v0
	s_wait_dscnt 0x0
	v_add_nc_u64_e32 v[14:15], v[14:15], v[50:51]
	s_mov_b32 s29, exec_lo
	s_delay_alu instid0(VALU_DEP_1)
	v_cmpx_lt_u64_e64 v[22:23], v[14:15]
	s_cbranch_execz .LBB16_842
; %bb.834:                              ;   in Loop: Header=BB16_804 Depth=2
	s_mov_b32 s40, 0
	s_mov_b32 s43, 0
                                        ; implicit-def: $sgpr41
                                        ; implicit-def: $sgpr42
	s_branch .LBB16_836
.LBB16_835:                             ;   in Loop: Header=BB16_836 Depth=3
	s_or_b32 exec_lo, exec_lo, s45
	s_delay_alu instid0(SALU_CYCLE_1) | instskip(NEXT) | instid1(SALU_CYCLE_1)
	s_and_b32 s44, exec_lo, s46
	s_or_b32 s40, s44, s40
	s_and_not1_b32 s41, s41, exec_lo
	s_and_b32 s44, s42, exec_lo
	s_delay_alu instid0(SALU_CYCLE_1)
	s_or_b32 s41, s41, s44
	s_and_not1_b32 exec_lo, exec_lo, s40
	s_cbranch_execz .LBB16_840
.LBB16_836:                             ;   Parent Loop BB16_73 Depth=1
                                        ;     Parent Loop BB16_804 Depth=2
                                        ; =>    This Inner Loop Header: Depth=3
	s_add_co_i32 s43, s43, 1
	s_delay_alu instid0(SALU_CYCLE_1) | instskip(SKIP_1) | instid1(SALU_CYCLE_1)
	s_cmp_lg_u32 s43, 0x2710
	s_cselect_b32 s44, -1, 0
	s_and_b32 vcc_lo, exec_lo, s44
	s_cbranch_vccz .LBB16_838
; %bb.837:                              ;   in Loop: Header=BB16_836 Depth=3
	s_mov_b32 s46, -1
	s_or_b32 s42, s42, exec_lo
	s_and_saveexec_b32 s45, s44
	s_cbranch_execz .LBB16_835
	s_branch .LBB16_839
.LBB16_838:                             ;   in Loop: Header=BB16_836 Depth=3
	s_trap 2
	ds_load_b64 v[22:23], v0
	s_and_not1_b32 s44, s44, exec_lo
	s_mov_b32 s43, 0
	s_wait_loadcnt_dscnt 0x0
	flat_load_b32 v3, v[22:23] scope:SCOPE_SYS
	s_wait_loadcnt_dscnt 0x0
	global_inv scope:SCOPE_SYS
	v_cmp_eq_u32_e32 vcc_lo, 0, v3
	s_and_b32 s45, vcc_lo, exec_lo
	s_delay_alu instid0(SALU_CYCLE_1)
	s_or_b32 s44, s44, s45
	s_mov_b32 s46, -1
	s_or_b32 s42, s42, exec_lo
	s_and_saveexec_b32 s45, s44
	s_cbranch_execz .LBB16_835
.LBB16_839:                             ;   in Loop: Header=BB16_836 Depth=3
	s_sleep 1
	s_trap 2
	ds_load_b64 v[22:23], v0
	s_wait_dscnt 0x0
	s_and_not1_b32 s42, s42, exec_lo
	v_cmp_ge_u64_e32 vcc_lo, v[22:23], v[14:15]
	s_or_not1_b32 s46, vcc_lo, exec_lo
	s_branch .LBB16_835
.LBB16_840:                             ;   in Loop: Header=BB16_804 Depth=2
	s_or_b32 exec_lo, exec_lo, s40
	s_and_saveexec_b32 s40, s41
	s_delay_alu instid0(SALU_CYCLE_1)
	s_xor_b32 s40, exec_lo, s40
	s_cbranch_execz .LBB16_842
; %bb.841:                              ;   in Loop: Header=BB16_804 Depth=2
	ds_store_b32 v0, v58
	s_trap 2
.LBB16_842:                             ;   in Loop: Header=BB16_804 Depth=2
	s_or_b32 exec_lo, exec_lo, s29
	;;#ASMSTART
	s_wakeup
	;;#ASMEND
.LBB16_843:                             ;   in Loop: Header=BB16_804 Depth=2
	s_or_b32 exec_lo, exec_lo, s28
.LBB16_844:                             ;   in Loop: Header=BB16_804 Depth=2
	s_and_not1_saveexec_b32 s17, s17
	s_cbranch_execz .LBB16_846
; %bb.845:                              ;   in Loop: Header=BB16_804 Depth=2
	global_wb scope:SCOPE_DEV
	s_wait_storecnt 0x0
	s_wait_loadcnt_dscnt 0x0
	global_inv scope:SCOPE_DEV
	s_barrier_signal -1
	s_barrier_wait -1
.LBB16_846:                             ;   in Loop: Header=BB16_804 Depth=2
	s_or_b32 exec_lo, exec_lo, s17
.LBB16_847:                             ;   in Loop: Header=BB16_804 Depth=2
	s_delay_alu instid0(SALU_CYCLE_1) | instskip(SKIP_3) | instid1(VALU_DEP_1)
	s_or_b32 exec_lo, exec_lo, s12
	s_trap 2
	ds_load_b32 v3, v0
	v_and_b32_e32 v22, 0x4000, v30
	v_cmp_ne_u32_e32 vcc_lo, 0, v22
	s_and_b32 s17, s27, vcc_lo
	s_delay_alu instid0(SALU_CYCLE_1)
	s_and_saveexec_b32 s12, s17
	s_cbranch_execz .LBB16_866
; %bb.848:                              ;   in Loop: Header=BB16_804 Depth=2
	s_and_saveexec_b32 s17, s2
	s_delay_alu instid0(SALU_CYCLE_1)
	s_xor_b32 s17, exec_lo, s17
	s_cbranch_execz .LBB16_863
; %bb.849:                              ;   in Loop: Header=BB16_804 Depth=2
	s_and_saveexec_b32 s28, s5
	s_cbranch_execz .LBB16_862
; %bb.850:                              ;   in Loop: Header=BB16_804 Depth=2
	s_mov_b32 s40, exec_lo
	s_mov_b32 s29, exec_lo
	v_mbcnt_lo_u32_b32 v22, s40, 0
	global_wb scope:SCOPE_DEV
	s_wait_storecnt 0x0
	s_wait_loadcnt_dscnt 0x0
	global_inv scope:SCOPE_DEV
	v_cmpx_eq_u32_e32 0, v22
	s_cbranch_execz .LBB16_852
; %bb.851:                              ;   in Loop: Header=BB16_804 Depth=2
	s_bcnt1_i32_b32 s40, s40
	s_delay_alu instid0(SALU_CYCLE_1)
	v_mov_b32_e32 v48, s40
	s_wait_loadcnt 0x0
	ds_add_u64 v0, v[48:49]
	s_trap 2
.LBB16_852:                             ;   in Loop: Header=BB16_804 Depth=2
	s_or_b32 exec_lo, exec_lo, s29
	s_trap 2
	ds_load_b64 v[22:23], v0
	s_wait_dscnt 0x0
	v_add_nc_u64_e32 v[14:15], v[14:15], v[50:51]
	s_mov_b32 s29, exec_lo
	s_delay_alu instid0(VALU_DEP_1)
	v_cmpx_lt_u64_e64 v[22:23], v[14:15]
	s_cbranch_execz .LBB16_861
; %bb.853:                              ;   in Loop: Header=BB16_804 Depth=2
	s_mov_b32 s40, 0
	s_mov_b32 s43, 0
                                        ; implicit-def: $sgpr41
                                        ; implicit-def: $sgpr42
	s_branch .LBB16_855
.LBB16_854:                             ;   in Loop: Header=BB16_855 Depth=3
	s_or_b32 exec_lo, exec_lo, s45
	s_delay_alu instid0(SALU_CYCLE_1) | instskip(NEXT) | instid1(SALU_CYCLE_1)
	s_and_b32 s44, exec_lo, s46
	s_or_b32 s40, s44, s40
	s_and_not1_b32 s41, s41, exec_lo
	s_and_b32 s44, s42, exec_lo
	s_delay_alu instid0(SALU_CYCLE_1)
	s_or_b32 s41, s41, s44
	s_and_not1_b32 exec_lo, exec_lo, s40
	s_cbranch_execz .LBB16_859
.LBB16_855:                             ;   Parent Loop BB16_73 Depth=1
                                        ;     Parent Loop BB16_804 Depth=2
                                        ; =>    This Inner Loop Header: Depth=3
	s_add_co_i32 s43, s43, 1
	s_delay_alu instid0(SALU_CYCLE_1) | instskip(SKIP_1) | instid1(SALU_CYCLE_1)
	s_cmp_lg_u32 s43, 0x2710
	s_cselect_b32 s44, -1, 0
	s_and_b32 vcc_lo, exec_lo, s44
	s_cbranch_vccz .LBB16_857
; %bb.856:                              ;   in Loop: Header=BB16_855 Depth=3
	s_mov_b32 s46, -1
	s_or_b32 s42, s42, exec_lo
	s_and_saveexec_b32 s45, s44
	s_cbranch_execz .LBB16_854
	s_branch .LBB16_858
.LBB16_857:                             ;   in Loop: Header=BB16_855 Depth=3
	s_trap 2
	ds_load_b64 v[22:23], v0
	s_and_not1_b32 s44, s44, exec_lo
	s_mov_b32 s43, 0
	s_wait_loadcnt_dscnt 0x0
	flat_load_b32 v22, v[22:23] scope:SCOPE_SYS
	s_wait_loadcnt_dscnt 0x0
	global_inv scope:SCOPE_SYS
	v_cmp_eq_u32_e32 vcc_lo, 0, v22
	s_and_b32 s45, vcc_lo, exec_lo
	s_delay_alu instid0(SALU_CYCLE_1)
	s_or_b32 s44, s44, s45
	s_mov_b32 s46, -1
	s_or_b32 s42, s42, exec_lo
	s_and_saveexec_b32 s45, s44
	s_cbranch_execz .LBB16_854
.LBB16_858:                             ;   in Loop: Header=BB16_855 Depth=3
	s_sleep 1
	s_trap 2
	ds_load_b64 v[22:23], v0
	s_wait_dscnt 0x0
	s_and_not1_b32 s42, s42, exec_lo
	v_cmp_ge_u64_e32 vcc_lo, v[22:23], v[14:15]
	s_or_not1_b32 s46, vcc_lo, exec_lo
	s_branch .LBB16_854
.LBB16_859:                             ;   in Loop: Header=BB16_804 Depth=2
	s_or_b32 exec_lo, exec_lo, s40
	s_and_saveexec_b32 s40, s41
	s_delay_alu instid0(SALU_CYCLE_1)
	s_xor_b32 s40, exec_lo, s40
	s_cbranch_execz .LBB16_861
; %bb.860:                              ;   in Loop: Header=BB16_804 Depth=2
	ds_store_b32 v0, v58
	s_trap 2
.LBB16_861:                             ;   in Loop: Header=BB16_804 Depth=2
	s_or_b32 exec_lo, exec_lo, s29
	;;#ASMSTART
	s_wakeup
	;;#ASMEND
.LBB16_862:                             ;   in Loop: Header=BB16_804 Depth=2
	s_or_b32 exec_lo, exec_lo, s28
.LBB16_863:                             ;   in Loop: Header=BB16_804 Depth=2
	s_and_not1_saveexec_b32 s17, s17
	s_cbranch_execz .LBB16_865
; %bb.864:                              ;   in Loop: Header=BB16_804 Depth=2
	global_wb scope:SCOPE_DEV
	s_wait_storecnt 0x0
	s_wait_loadcnt_dscnt 0x0
	global_inv scope:SCOPE_DEV
	s_barrier_signal -1
	s_barrier_wait -1
.LBB16_865:                             ;   in Loop: Header=BB16_804 Depth=2
	s_or_b32 exec_lo, exec_lo, s17
.LBB16_866:                             ;   in Loop: Header=BB16_804 Depth=2
	s_delay_alu instid0(SALU_CYCLE_1) | instskip(SKIP_3) | instid1(VALU_DEP_1)
	s_or_b32 exec_lo, exec_lo, s12
	s_trap 2
	ds_load_b64 v[100:101], v0
	v_sub_nc_u32_e32 v22, v63, v2
	v_min_i32_e32 v72, v72, v22
	s_wait_dscnt 0x0
	v_cmp_eq_u64_e32 vcc_lo, 0, v[100:101]
	s_cbranch_vccnz .LBB16_874
; %bb.867:                              ;   in Loop: Header=BB16_804 Depth=2
	s_trap 2
	ds_load_b64 v[102:103], v0
	s_wait_dscnt 0x0
	v_cmp_eq_u64_e32 vcc_lo, 0, v[102:103]
	s_cbranch_vccnz .LBB16_874
; %bb.868:                              ;   in Loop: Header=BB16_804 Depth=2
	s_mov_b32 s12, -1
	s_and_saveexec_b32 s17, s11
	s_cbranch_execz .LBB16_870
; %bb.869:                              ;   in Loop: Header=BB16_804 Depth=2
	ds_load_b32 v22, v0 offset:720
	s_wait_dscnt 0x0
	v_and_b32_e32 v22, 15, v22
	s_delay_alu instid0(VALU_DEP_1)
	v_cmp_eq_u32_e32 vcc_lo, 0, v22
	s_or_not1_b32 s12, vcc_lo, exec_lo
.LBB16_870:                             ;   in Loop: Header=BB16_804 Depth=2
	s_or_b32 exec_lo, exec_lo, s17
	s_and_saveexec_b32 s17, s6
	s_cbranch_execz .LBB16_872
; %bb.871:                              ;   in Loop: Header=BB16_804 Depth=2
	ds_load_b32 v22, v0 offset:784
	s_wait_dscnt 0x0
	v_and_b32_e32 v22, 15, v22
	s_delay_alu instid0(VALU_DEP_1) | instskip(SKIP_3) | instid1(SALU_CYCLE_1)
	v_cmp_eq_u32_e32 vcc_lo, 0, v22
	s_and_b32 s28, s12, vcc_lo
	s_and_not1_b32 s12, s12, exec_lo
	s_and_b32 s28, s28, exec_lo
	s_or_b32 s12, s12, s28
.LBB16_872:                             ;   in Loop: Header=BB16_804 Depth=2
	s_or_b32 exec_lo, exec_lo, s17
	v_cmp_eq_u32_e32 vcc_lo, 0, v3
	s_xor_b32 s12, s12, -1
	v_mov_b32_e32 v112, v61
	v_cndmask_b32_e64 v22, 0, 1, s12
	s_mov_b32 s28, -1
	v_dual_cndmask_b32 v3, 0, v72 :: v_dual_mov_b32 v48, 0
	v_mov_b32_e32 v115, v0
	s_delay_alu instid0(VALU_DEP_3) | instskip(NEXT) | instid1(VALU_DEP_3)
	v_cmp_ne_u32_e32 vcc_lo, 0, v22
	v_mov_b32_e32 v114, v3
	s_cbranch_vccz .LBB16_879
; %bb.873:                              ;   in Loop: Header=BB16_804 Depth=2
	s_and_saveexec_b32 s12, s28
	s_cbranch_execnz .LBB16_892
	s_branch .LBB16_900
.LBB16_874:                             ;   in Loop: Header=BB16_804 Depth=2
	s_mov_b32 s12, 0
	s_and_saveexec_b32 s17, s1
	s_cbranch_execnz .LBB16_901
.LBB16_875:                             ;   in Loop: Header=BB16_804 Depth=2
	s_or_b32 exec_lo, exec_lo, s17
	s_and_saveexec_b32 s17, s10
	s_delay_alu instid0(SALU_CYCLE_1)
	s_xor_b32 s17, exec_lo, s17
	s_cbranch_execz .LBB16_919
.LBB16_876:                             ;   in Loop: Header=BB16_804 Depth=2
	v_and_b32_e32 v3, 16, v30
	s_delay_alu instid0(VALU_DEP_1) | instskip(SKIP_1) | instid1(SALU_CYCLE_1)
	v_cmp_ne_u32_e32 vcc_lo, 0, v3
	s_and_b32 s28, vcc_lo, s12
	s_and_saveexec_b32 s12, s28
	s_cbranch_execz .LBB16_878
; %bb.877:                              ;   in Loop: Header=BB16_804 Depth=2
	global_wb scope:SCOPE_SYS
	s_wait_storecnt 0x0
	s_wait_loadcnt_dscnt 0x0
	global_inv scope:SCOPE_SYS
.LBB16_878:                             ;   in Loop: Header=BB16_804 Depth=2
	s_or_b32 exec_lo, exec_lo, s12
	s_and_not1_saveexec_b32 s12, s17
	s_cbranch_execz .LBB16_938
	s_branch .LBB16_920
.LBB16_879:                             ;   in Loop: Header=BB16_804 Depth=2
	v_ashrrev_i32_e32 v22, 31, v3
	s_mov_b32 s12, exec_lo
	s_delay_alu instid0(VALU_DEP_1) | instskip(NEXT) | instid1(VALU_DEP_1)
	v_lshrrev_b32_e32 v22, 20, v22
	v_add_nc_u32_e32 v22, v3, v22
	s_delay_alu instid0(VALU_DEP_1) | instskip(NEXT) | instid1(VALU_DEP_1)
	v_ashrrev_i32_e32 v48, 12, v22
	v_sub_nc_u32_e32 v117, v48, v61
	s_delay_alu instid0(VALU_DEP_1)
	v_cmpx_lt_i32_e32 0, v117
	s_cbranch_execz .LBB16_883
; %bb.880:                              ;   in Loop: Header=BB16_804 Depth=2
	v_mov_b64_e32 v[112:113], v[102:103]
	v_mov_b64_e32 v[114:115], v[100:101]
	s_mov_b32 s17, 0
.LBB16_881:                             ;   Parent Loop BB16_73 Depth=1
                                        ;     Parent Loop BB16_804 Depth=2
                                        ; =>    This Inner Loop Header: Depth=3
	s_delay_alu instid0(VALU_DEP_1)
	v_add_nc_u64_e32 v[118:119], v[96:97], v[114:115]
	v_sub_nc_u32_e32 v117, v117, v50
	v_add_nc_u64_e32 v[114:115], v[114:115], v[70:71]
	s_clause 0x7
	global_load_b128 v[22:25], v[118:119], off th:TH_LOAD_NT
	global_load_b128 v[40:43], v[118:119], off offset:512 th:TH_LOAD_NT
	global_load_b128 v[44:47], v[118:119], off offset:1024 th:TH_LOAD_NT
	;; [unrolled: 1-line block ×7, first 2 shown]
	s_wait_xcnt 0x0
	v_add_nc_u64_e32 v[118:119], v[96:97], v[112:113]
	v_add_nc_u64_e32 v[112:113], v[112:113], v[70:71]
	v_cmp_gt_i32_e32 vcc_lo, 1, v117
	s_wait_loadcnt 0x7
	global_store_b128 v[118:119], v[22:25], off th:TH_STORE_NT
	s_wait_loadcnt 0x6
	global_store_b128 v[118:119], v[40:43], off offset:512 th:TH_STORE_NT
	s_wait_loadcnt 0x5
	global_store_b128 v[118:119], v[44:47], off offset:1024 th:TH_STORE_NT
	;; [unrolled: 2-line block ×7, first 2 shown]
	s_or_b32 s17, vcc_lo, s17
	s_wait_xcnt 0x0
	s_and_not1_b32 exec_lo, exec_lo, s17
	s_cbranch_execnz .LBB16_881
; %bb.882:                              ;   in Loop: Header=BB16_804 Depth=2
	s_or_b32 exec_lo, exec_lo, s17
.LBB16_883:                             ;   in Loop: Header=BB16_804 Depth=2
	s_delay_alu instid0(SALU_CYCLE_1) | instskip(SKIP_3) | instid1(VALU_DEP_1)
	s_or_b32 exec_lo, exec_lo, s12
	v_dual_lshlrev_b32 v116, 12, v48 :: v_dual_mov_b32 v48, 0
	s_mov_b32 s28, 0
	s_mov_b32 s17, exec_lo
                                        ; implicit-def: $vgpr114
                                        ; implicit-def: $vgpr115
                                        ; implicit-def: $vgpr112
	v_cmpx_ne_u32_e64 v3, v116
	s_cbranch_execz .LBB16_891
; %bb.884:                              ;   in Loop: Header=BB16_804 Depth=2
	v_dual_lshlrev_b32 v22, 5, v117 :: v_dual_sub_nc_u32 v24, v3, v116
	s_mov_b32 s28, exec_lo
	s_delay_alu instid0(VALU_DEP_1) | instskip(NEXT) | instid1(VALU_DEP_1)
	v_dual_sub_nc_u32 v22, v62, v22 :: v_dual_ashrrev_i32 v25, 31, v24
	v_dual_ashrrev_i32 v23, 31, v22 :: v_dual_lshrrev_b32 v25, 23, v25
	s_delay_alu instid0(VALU_DEP_1) | instskip(NEXT) | instid1(VALU_DEP_1)
	v_lshrrev_b32_e32 v23, 27, v23
	v_add_nc_u32_e32 v23, v22, v23
	s_delay_alu instid0(VALU_DEP_1) | instskip(NEXT) | instid1(VALU_DEP_1)
	v_and_b32_e32 v48, 0xffffffe0, v23
	v_dual_add_nc_u32 v25, v24, v25 :: v_dual_sub_nc_u32 v118, v22, v48
	s_delay_alu instid0(VALU_DEP_1) | instskip(NEXT) | instid1(VALU_DEP_2)
	v_and_b32_e32 v117, 0xfffffe00, v25
	v_dual_ashrrev_i32 v22, 5, v23 :: v_dual_lshlrev_b32 v23, 4, v118
	v_ashrrev_i32_e32 v25, 9, v25
	s_delay_alu instid0(VALU_DEP_2) | instskip(NEXT) | instid1(VALU_DEP_1)
	v_lshl_add_u32 v112, v22, 9, v23
	v_dual_sub_nc_u32 v119, v24, v117 :: v_dual_sub_nc_u32 v48, v24, v112
	s_delay_alu instid0(VALU_DEP_1) | instskip(NEXT) | instid1(VALU_DEP_4)
	v_cmp_lt_i32_e32 vcc_lo, 15, v119
	v_add_co_ci_u32_e64 v23, null, 0, v25, vcc_lo
	s_delay_alu instid0(VALU_DEP_1) | instskip(NEXT) | instid1(VALU_DEP_4)
	v_sub_nc_u32_e32 v40, v23, v22
	v_cmpx_lt_i32_e32 15, v48
	s_cbranch_execz .LBB16_888
; %bb.885:                              ;   in Loop: Header=BB16_804 Depth=2
	v_add_nc_u32_e32 v112, v112, v116
	s_mov_b32 s29, 0
	s_delay_alu instid0(VALU_DEP_1)
	v_ashrrev_i32_e32 v113, 31, v112
.LBB16_886:                             ;   Parent Loop BB16_73 Depth=1
                                        ;     Parent Loop BB16_804 Depth=2
                                        ; =>    This Inner Loop Header: Depth=3
	s_delay_alu instid0(VALU_DEP_1) | instskip(SKIP_4) | instid1(VALU_DEP_4)
	v_add_nc_u64_e32 v[22:23], v[100:101], v[112:113]
	v_sub_nc_u32_e32 v48, v48, v60
	v_add_nc_u64_e32 v[114:115], v[102:103], v[112:113]
	v_add_nc_u64_e32 v[112:113], v[112:113], v[86:87]
	v_sub_nc_u32_e32 v40, v40, v50
	v_cmp_gt_i32_e64 s12, 16, v48
	global_load_b128 v[22:25], v[22:23], off th:TH_LOAD_NT
	s_or_b32 s29, s12, s29
	s_wait_loadcnt 0x0
	global_store_b128 v[114:115], v[22:25], off th:TH_STORE_NT
	s_wait_xcnt 0x0
	s_and_not1_b32 exec_lo, exec_lo, s29
	s_cbranch_execnz .LBB16_886
; %bb.887:                              ;   in Loop: Header=BB16_804 Depth=2
	s_or_b32 exec_lo, exec_lo, s29
.LBB16_888:                             ;   in Loop: Header=BB16_804 Depth=2
	s_delay_alu instid0(SALU_CYCLE_1) | instskip(SKIP_3) | instid1(VALU_DEP_1)
	s_or_b32 exec_lo, exec_lo, s28
	v_dual_mov_b32 v48, 0 :: v_dual_bitop2_b32 v113, 15, v3 bitop3:0x40
	s_mov_b32 s28, 0
	s_mov_b32 s29, exec_lo
                                        ; implicit-def: $vgpr115
                                        ; implicit-def: $vgpr112
	v_cndmask_b32_e32 v114, v119, v113, vcc_lo
	s_delay_alu instid0(VALU_DEP_1)
	v_cmpx_ne_u32_e32 0, v114
	s_cbranch_execz .LBB16_890
; %bb.889:                              ;   in Loop: Header=BB16_804 Depth=2
	v_cmp_lt_i32_e64 s12, 0, v40
	s_mov_b32 s28, exec_lo
	v_dual_sub_nc_u32 v23, v119, v113 :: v_dual_cndmask_b32 v22, 0, v50, s12
	s_delay_alu instid0(VALU_DEP_1) | instskip(NEXT) | instid1(VALU_DEP_1)
	v_dual_cndmask_b32 v23, 0, v23 :: v_dual_sub_nc_u32 v22, v22, v40
	v_add3_u32 v48, v117, v116, v23
	s_delay_alu instid0(VALU_DEP_2) | instskip(NEXT) | instid1(VALU_DEP_1)
	v_lshl_add_u32 v115, v22, 5, v118
	v_ashrrev_i32_e32 v22, 31, v115
	s_delay_alu instid0(VALU_DEP_1) | instskip(NEXT) | instid1(VALU_DEP_1)
	v_lshrrev_b32_e32 v22, 27, v22
	v_add_nc_u32_e32 v22, v115, v22
	s_delay_alu instid0(VALU_DEP_1)
	v_ashrrev_i32_e32 v112, 5, v22
.LBB16_890:                             ;   in Loop: Header=BB16_804 Depth=2
	s_or_b32 exec_lo, exec_lo, s29
	s_delay_alu instid0(SALU_CYCLE_1)
	s_and_b32 s28, s28, exec_lo
.LBB16_891:                             ;   in Loop: Header=BB16_804 Depth=2
	s_or_b32 exec_lo, exec_lo, s17
	s_and_saveexec_b32 s12, s28
	s_cbranch_execz .LBB16_900
.LBB16_892:                             ;   in Loop: Header=BB16_804 Depth=2
	v_ashrrev_i32_e32 v22, 31, v114
	s_mov_b32 s17, exec_lo
	s_delay_alu instid0(VALU_DEP_1) | instskip(NEXT) | instid1(VALU_DEP_1)
	v_lshrrev_b32_e32 v22, 22, v22
	v_add_nc_u32_e32 v22, v114, v22
	s_delay_alu instid0(VALU_DEP_1) | instskip(NEXT) | instid1(VALU_DEP_1)
	v_dual_ashrrev_i32 v118, 10, v22 :: v_dual_ashrrev_i32 v22, 31, v115
	v_dual_sub_nc_u32 v116, v118, v112 :: v_dual_lshrrev_b32 v117, 27, v22
	s_delay_alu instid0(VALU_DEP_1)
	v_cmpx_lt_i32_e32 0, v116
	s_cbranch_execz .LBB16_896
; %bb.893:                              ;   in Loop: Header=BB16_804 Depth=2
	s_delay_alu instid0(VALU_DEP_2) | instskip(SKIP_1) | instid1(VALU_DEP_1)
	v_dual_add_nc_u32 v22, v115, v117 :: v_dual_lshlrev_b32 v23, 10, v112
	s_mov_b32 s28, 0
	v_and_b32_e32 v22, 0xffffffe0, v22
	s_delay_alu instid0(VALU_DEP_1) | instskip(NEXT) | instid1(VALU_DEP_1)
	v_sub_nc_u32_e32 v22, v115, v22
	v_add3_u32 v112, v48, v22, v23
	s_delay_alu instid0(VALU_DEP_1)
	v_ashrrev_i32_e32 v113, 31, v112
.LBB16_894:                             ;   Parent Loop BB16_73 Depth=1
                                        ;     Parent Loop BB16_804 Depth=2
                                        ; =>    This Inner Loop Header: Depth=3
	s_delay_alu instid0(VALU_DEP_1)
	v_add_nc_u64_e32 v[22:23], v[112:113], v[100:101]
	v_sub_nc_u32_e32 v116, v116, v50
	v_add_nc_u64_e32 v[100:101], v[100:101], v[66:67]
	s_clause 0x1f
	flat_load_u8 v24, v[22:23] th:TH_LOAD_NT
	flat_load_u8 v25, v[22:23] offset:32 th:TH_LOAD_NT
	flat_load_u8 v119, v[22:23] offset:64 th:TH_LOAD_NT
	;; [unrolled: 1-line block ×31, first 2 shown]
	s_wait_xcnt 0x0
	v_add_nc_u64_e32 v[22:23], v[112:113], v[102:103]
	v_add_nc_u64_e32 v[102:103], v[102:103], v[66:67]
	v_cmp_gt_i32_e32 vcc_lo, 1, v116
	s_wait_loadcnt_dscnt 0x1f1f
	flat_store_b8 v[22:23], v24 th:TH_STORE_NT
	s_wait_loadcnt_dscnt 0x1e1f
	flat_store_b8 v[22:23], v25 offset:32 th:TH_STORE_NT
	s_wait_loadcnt_dscnt 0x1d1f
	flat_store_b8 v[22:23], v119 offset:64 th:TH_STORE_NT
	;; [unrolled: 2-line block ×31, first 2 shown]
	s_or_b32 s28, vcc_lo, s28
	s_wait_xcnt 0x0
	s_and_not1_b32 exec_lo, exec_lo, s28
	s_cbranch_execnz .LBB16_894
; %bb.895:                              ;   in Loop: Header=BB16_804 Depth=2
	s_or_b32 exec_lo, exec_lo, s28
.LBB16_896:                             ;   in Loop: Header=BB16_804 Depth=2
	s_delay_alu instid0(SALU_CYCLE_1) | instskip(SKIP_1) | instid1(VALU_DEP_1)
	s_or_b32 exec_lo, exec_lo, s17
	v_lshlrev_b32_e32 v100, 10, v118
	v_cmp_ne_u32_e32 vcc_lo, v114, v100
	s_and_b32 exec_lo, exec_lo, vcc_lo
	s_cbranch_execz .LBB16_900
; %bb.897:                              ;   in Loop: Header=BB16_804 Depth=2
	v_dual_add_nc_u32 v22, v115, v117 :: v_dual_lshlrev_b32 v23, 5, v116
	s_delay_alu instid0(VALU_DEP_1) | instskip(NEXT) | instid1(VALU_DEP_1)
	v_and_b32_e32 v22, 0xffffffe0, v22
	v_sub_nc_u32_e32 v22, v115, v22
	s_delay_alu instid0(VALU_DEP_1) | instskip(NEXT) | instid1(VALU_DEP_1)
	v_sub_nc_u32_e32 v22, v22, v23
	v_add_nc_u32_e32 v102, v100, v22
	s_delay_alu instid0(VALU_DEP_1) | instskip(NEXT) | instid1(VALU_DEP_1)
	v_sub_nc_u32_e32 v112, v114, v102
	v_cmp_lt_i32_e32 vcc_lo, 0, v112
	s_and_b32 exec_lo, exec_lo, vcc_lo
	s_cbranch_execz .LBB16_900
; %bb.898:                              ;   in Loop: Header=BB16_804 Depth=2
	s_trap 2
	ds_load_b64 v[100:101], v0
	v_add_nc_u32_e32 v102, v102, v48
	s_mov_b32 s17, 0
	s_delay_alu instid0(VALU_DEP_1)
	v_ashrrev_i32_e32 v103, 31, v102
.LBB16_899:                             ;   Parent Loop BB16_73 Depth=1
                                        ;     Parent Loop BB16_804 Depth=2
                                        ; =>    This Inner Loop Header: Depth=3
	s_wait_dscnt 0x0
	s_delay_alu instid0(VALU_DEP_1) | instskip(SKIP_2) | instid1(VALU_DEP_2)
	v_add_nc_u64_e32 v[22:23], v[100:101], v[102:103]
	v_sub_nc_u32_e32 v112, v112, v57
	v_add_nc_u64_e32 v[102:103], v[102:103], v[84:85]
	v_cmp_gt_i32_e32 vcc_lo, 1, v112
	flat_load_u8 v24, v[22:23] th:TH_LOAD_NT
	s_or_b32 s17, vcc_lo, s17
	s_wait_loadcnt_dscnt 0x0
	flat_store_b8 v[22:23], v24 th:TH_STORE_NT
	s_wait_xcnt 0x0
	s_and_not1_b32 exec_lo, exec_lo, s17
	s_cbranch_execnz .LBB16_899
.LBB16_900:                             ;   in Loop: Header=BB16_804 Depth=2
	s_or_b32 exec_lo, exec_lo, s12
	v_cmp_lt_i32_e64 s12, 0, v3
	s_and_saveexec_b32 s17, s1
	s_cbranch_execz .LBB16_875
.LBB16_901:                             ;   in Loop: Header=BB16_804 Depth=2
	s_and_saveexec_b32 s28, s2
	s_delay_alu instid0(SALU_CYCLE_1)
	s_xor_b32 s28, exec_lo, s28
	s_cbranch_execz .LBB16_916
; %bb.902:                              ;   in Loop: Header=BB16_804 Depth=2
	s_and_saveexec_b32 s29, s5
	s_cbranch_execz .LBB16_915
; %bb.903:                              ;   in Loop: Header=BB16_804 Depth=2
	s_mov_b32 s41, exec_lo
	s_mov_b32 s40, exec_lo
	v_mbcnt_lo_u32_b32 v3, s41, 0
	global_wb scope:SCOPE_DEV
	s_wait_storecnt 0x0
	s_wait_loadcnt_dscnt 0x0
	global_inv scope:SCOPE_DEV
	v_cmpx_eq_u32_e32 0, v3
	s_cbranch_execz .LBB16_905
; %bb.904:                              ;   in Loop: Header=BB16_804 Depth=2
	s_bcnt1_i32_b32 s41, s41
	s_delay_alu instid0(SALU_CYCLE_1)
	v_mov_b32_e32 v48, s41
	s_wait_loadcnt 0x0
	ds_add_u64 v0, v[48:49]
	s_trap 2
.LBB16_905:                             ;   in Loop: Header=BB16_804 Depth=2
	s_or_b32 exec_lo, exec_lo, s40
	s_trap 2
	ds_load_b64 v[22:23], v0
	s_wait_dscnt 0x0
	v_add_nc_u64_e32 v[14:15], v[14:15], v[50:51]
	s_mov_b32 s40, exec_lo
	s_delay_alu instid0(VALU_DEP_1)
	v_cmpx_lt_u64_e64 v[22:23], v[14:15]
	s_cbranch_execz .LBB16_914
; %bb.906:                              ;   in Loop: Header=BB16_804 Depth=2
	s_mov_b32 s41, 0
	s_mov_b32 s44, 0
                                        ; implicit-def: $sgpr42
                                        ; implicit-def: $sgpr43
	s_branch .LBB16_908
.LBB16_907:                             ;   in Loop: Header=BB16_908 Depth=3
	s_or_b32 exec_lo, exec_lo, s46
	s_delay_alu instid0(SALU_CYCLE_1) | instskip(NEXT) | instid1(SALU_CYCLE_1)
	s_and_b32 s45, exec_lo, s47
	s_or_b32 s41, s45, s41
	s_and_not1_b32 s42, s42, exec_lo
	s_and_b32 s45, s43, exec_lo
	s_delay_alu instid0(SALU_CYCLE_1)
	s_or_b32 s42, s42, s45
	s_and_not1_b32 exec_lo, exec_lo, s41
	s_cbranch_execz .LBB16_912
.LBB16_908:                             ;   Parent Loop BB16_73 Depth=1
                                        ;     Parent Loop BB16_804 Depth=2
                                        ; =>    This Inner Loop Header: Depth=3
	s_add_co_i32 s44, s44, 1
	s_delay_alu instid0(SALU_CYCLE_1) | instskip(SKIP_1) | instid1(SALU_CYCLE_1)
	s_cmp_lg_u32 s44, 0x2710
	s_cselect_b32 s45, -1, 0
	s_and_b32 vcc_lo, exec_lo, s45
	s_cbranch_vccz .LBB16_910
; %bb.909:                              ;   in Loop: Header=BB16_908 Depth=3
	s_mov_b32 s47, -1
	s_or_b32 s43, s43, exec_lo
	s_and_saveexec_b32 s46, s45
	s_cbranch_execz .LBB16_907
	s_branch .LBB16_911
.LBB16_910:                             ;   in Loop: Header=BB16_908 Depth=3
	s_trap 2
	ds_load_b64 v[22:23], v0
	s_and_not1_b32 s45, s45, exec_lo
	s_mov_b32 s44, 0
	s_wait_loadcnt_dscnt 0x0
	flat_load_b32 v3, v[22:23] scope:SCOPE_SYS
	s_wait_loadcnt_dscnt 0x0
	global_inv scope:SCOPE_SYS
	v_cmp_eq_u32_e32 vcc_lo, 0, v3
	s_and_b32 s46, vcc_lo, exec_lo
	s_delay_alu instid0(SALU_CYCLE_1)
	s_or_b32 s45, s45, s46
	s_mov_b32 s47, -1
	s_or_b32 s43, s43, exec_lo
	s_and_saveexec_b32 s46, s45
	s_cbranch_execz .LBB16_907
.LBB16_911:                             ;   in Loop: Header=BB16_908 Depth=3
	s_sleep 1
	s_trap 2
	ds_load_b64 v[22:23], v0
	s_wait_dscnt 0x0
	s_and_not1_b32 s43, s43, exec_lo
	v_cmp_ge_u64_e32 vcc_lo, v[22:23], v[14:15]
	s_or_not1_b32 s47, vcc_lo, exec_lo
	s_branch .LBB16_907
.LBB16_912:                             ;   in Loop: Header=BB16_804 Depth=2
	s_or_b32 exec_lo, exec_lo, s41
	s_and_saveexec_b32 s41, s42
	s_delay_alu instid0(SALU_CYCLE_1)
	s_xor_b32 s41, exec_lo, s41
	s_cbranch_execz .LBB16_914
; %bb.913:                              ;   in Loop: Header=BB16_804 Depth=2
	ds_store_b32 v0, v58
	s_trap 2
.LBB16_914:                             ;   in Loop: Header=BB16_804 Depth=2
	s_or_b32 exec_lo, exec_lo, s40
	;;#ASMSTART
	s_wakeup
	;;#ASMEND
.LBB16_915:                             ;   in Loop: Header=BB16_804 Depth=2
	s_or_b32 exec_lo, exec_lo, s29
.LBB16_916:                             ;   in Loop: Header=BB16_804 Depth=2
	s_and_not1_saveexec_b32 s28, s28
	s_cbranch_execz .LBB16_918
; %bb.917:                              ;   in Loop: Header=BB16_804 Depth=2
	global_wb scope:SCOPE_DEV
	s_wait_storecnt 0x0
	s_wait_loadcnt_dscnt 0x0
	global_inv scope:SCOPE_DEV
	s_barrier_signal -1
	s_barrier_wait -1
.LBB16_918:                             ;   in Loop: Header=BB16_804 Depth=2
	s_or_b32 exec_lo, exec_lo, s28
	s_delay_alu instid0(SALU_CYCLE_1) | instskip(SKIP_1) | instid1(SALU_CYCLE_1)
	s_or_b32 exec_lo, exec_lo, s17
	s_and_saveexec_b32 s17, s10
	s_xor_b32 s17, exec_lo, s17
	s_cbranch_execnz .LBB16_876
.LBB16_919:                             ;   in Loop: Header=BB16_804 Depth=2
	s_and_not1_saveexec_b32 s12, s17
	s_cbranch_execz .LBB16_938
.LBB16_920:                             ;   in Loop: Header=BB16_804 Depth=2
	s_and_saveexec_b32 s17, s2
	s_delay_alu instid0(SALU_CYCLE_1)
	s_xor_b32 s17, exec_lo, s17
	s_cbranch_execz .LBB16_935
; %bb.921:                              ;   in Loop: Header=BB16_804 Depth=2
	s_and_saveexec_b32 s28, s5
	s_cbranch_execz .LBB16_934
; %bb.922:                              ;   in Loop: Header=BB16_804 Depth=2
	s_mov_b32 s40, exec_lo
	s_mov_b32 s29, exec_lo
	v_mbcnt_lo_u32_b32 v3, s40, 0
	;;#ASMSTART
	s_waitcnt lgkmcnt(0) vmcnt(0)
	;;#ASMEND
	s_delay_alu instid0(VALU_DEP_1)
	v_cmpx_eq_u32_e32 0, v3
	s_cbranch_execz .LBB16_924
; %bb.923:                              ;   in Loop: Header=BB16_804 Depth=2
	s_bcnt1_i32_b32 s40, s40
	s_delay_alu instid0(SALU_CYCLE_1)
	v_mov_b32_e32 v48, s40
	s_wait_storecnt 0x0
	s_wait_loadcnt_dscnt 0x0
	ds_add_u64 v0, v[48:49]
	s_trap 2
.LBB16_924:                             ;   in Loop: Header=BB16_804 Depth=2
	s_or_b32 exec_lo, exec_lo, s29
	s_trap 2
	ds_load_b64 v[22:23], v0
	s_wait_dscnt 0x0
	v_add_nc_u64_e32 v[14:15], v[14:15], v[50:51]
	s_mov_b32 s29, exec_lo
	s_delay_alu instid0(VALU_DEP_1)
	v_cmpx_lt_u64_e64 v[22:23], v[14:15]
	s_cbranch_execz .LBB16_933
; %bb.925:                              ;   in Loop: Header=BB16_804 Depth=2
	s_mov_b32 s40, 0
	s_mov_b32 s43, 0
                                        ; implicit-def: $sgpr41
                                        ; implicit-def: $sgpr42
	s_branch .LBB16_927
.LBB16_926:                             ;   in Loop: Header=BB16_927 Depth=3
	s_or_b32 exec_lo, exec_lo, s45
	s_delay_alu instid0(SALU_CYCLE_1) | instskip(NEXT) | instid1(SALU_CYCLE_1)
	s_and_b32 s44, exec_lo, s46
	s_or_b32 s40, s44, s40
	s_and_not1_b32 s41, s41, exec_lo
	s_and_b32 s44, s42, exec_lo
	s_delay_alu instid0(SALU_CYCLE_1)
	s_or_b32 s41, s41, s44
	s_and_not1_b32 exec_lo, exec_lo, s40
	s_cbranch_execz .LBB16_931
.LBB16_927:                             ;   Parent Loop BB16_73 Depth=1
                                        ;     Parent Loop BB16_804 Depth=2
                                        ; =>    This Inner Loop Header: Depth=3
	s_add_co_i32 s43, s43, 1
	s_delay_alu instid0(SALU_CYCLE_1) | instskip(SKIP_1) | instid1(SALU_CYCLE_1)
	s_cmp_lg_u32 s43, 0x2710
	s_cselect_b32 s44, -1, 0
	s_and_b32 vcc_lo, exec_lo, s44
	s_cbranch_vccz .LBB16_929
; %bb.928:                              ;   in Loop: Header=BB16_927 Depth=3
	s_mov_b32 s46, -1
	s_or_b32 s42, s42, exec_lo
	s_and_saveexec_b32 s45, s44
	s_cbranch_execz .LBB16_926
	s_branch .LBB16_930
.LBB16_929:                             ;   in Loop: Header=BB16_927 Depth=3
	s_trap 2
	ds_load_b64 v[22:23], v0
	s_and_not1_b32 s44, s44, exec_lo
	s_mov_b32 s43, 0
	s_wait_storecnt 0x0
	s_wait_loadcnt_dscnt 0x0
	flat_load_b32 v3, v[22:23] scope:SCOPE_SYS
	s_wait_loadcnt_dscnt 0x0
	global_inv scope:SCOPE_SYS
	v_cmp_eq_u32_e32 vcc_lo, 0, v3
	s_and_b32 s45, vcc_lo, exec_lo
	s_delay_alu instid0(SALU_CYCLE_1)
	s_or_b32 s44, s44, s45
	s_mov_b32 s46, -1
	s_or_b32 s42, s42, exec_lo
	s_and_saveexec_b32 s45, s44
	s_cbranch_execz .LBB16_926
.LBB16_930:                             ;   in Loop: Header=BB16_927 Depth=3
	s_sleep 1
	s_trap 2
	ds_load_b64 v[22:23], v0
	s_wait_dscnt 0x0
	s_and_not1_b32 s42, s42, exec_lo
	v_cmp_ge_u64_e32 vcc_lo, v[22:23], v[14:15]
	s_or_not1_b32 s46, vcc_lo, exec_lo
	s_branch .LBB16_926
.LBB16_931:                             ;   in Loop: Header=BB16_804 Depth=2
	s_or_b32 exec_lo, exec_lo, s40
	s_and_saveexec_b32 s40, s41
	s_delay_alu instid0(SALU_CYCLE_1)
	s_xor_b32 s40, exec_lo, s40
	s_cbranch_execz .LBB16_933
; %bb.932:                              ;   in Loop: Header=BB16_804 Depth=2
	ds_store_b32 v0, v58
	s_trap 2
.LBB16_933:                             ;   in Loop: Header=BB16_804 Depth=2
	s_or_b32 exec_lo, exec_lo, s29
	;;#ASMSTART
	s_wakeup
	;;#ASMEND
.LBB16_934:                             ;   in Loop: Header=BB16_804 Depth=2
	s_or_b32 exec_lo, exec_lo, s28
.LBB16_935:                             ;   in Loop: Header=BB16_804 Depth=2
	s_and_not1_saveexec_b32 s17, s17
	s_cbranch_execz .LBB16_937
; %bb.936:                              ;   in Loop: Header=BB16_804 Depth=2
	;;#ASMSTART
	s_waitcnt lgkmcnt(0) vmcnt(0)
	;;#ASMEND
	s_barrier_signal -1
	s_barrier_wait -1
.LBB16_937:                             ;   in Loop: Header=BB16_804 Depth=2
	s_or_b32 exec_lo, exec_lo, s17
.LBB16_938:                             ;   in Loop: Header=BB16_804 Depth=2
	s_delay_alu instid0(SALU_CYCLE_1) | instskip(SKIP_2) | instid1(VALU_DEP_1)
	s_or_b32 exec_lo, exec_lo, s12
	v_and_b32_e32 v3, 32, v30
	s_mov_b32 s12, exec_lo
	v_cmpx_ne_u32_e32 0, v3
	s_cbranch_execz .LBB16_803
; %bb.939:                              ;   in Loop: Header=BB16_804 Depth=2
	v_add_nc_u64_e32 v[98:99], 2, v[98:99]
	global_wb scope:SCOPE_SYS
	s_wait_storecnt 0x0
	s_wait_loadcnt_dscnt 0x0
	flat_store_b64 v[26:27], v[98:99] scope:SCOPE_SYS
	s_branch .LBB16_803
.LBB16_940:                             ;   in Loop: Header=BB16_73 Depth=1
	s_or_b32 exec_lo, exec_lo, s14
.LBB16_941:                             ;   in Loop: Header=BB16_73 Depth=1
	s_delay_alu instid0(SALU_CYCLE_1) | instskip(NEXT) | instid1(SALU_CYCLE_1)
	s_or_b32 exec_lo, exec_lo, s13
	s_mov_b32 s13, exec_lo
	v_cmpx_gt_i32_e32 2, v3
	s_cbranch_execz .LBB16_72
; %bb.942:                              ;   in Loop: Header=BB16_73 Depth=1
	v_cmp_eq_u32_e64 s15, 0, v3
	s_mov_b32 s14, 0
	s_branch .LBB16_944
.LBB16_943:                             ;   in Loop: Header=BB16_944 Depth=2
	s_wait_xcnt 0x0
	s_or_b32 exec_lo, exec_lo, s12
	v_add_nc_u32_e32 v2, v72, v2
	s_mov_b32 s15, 0
	s_and_not1_b32 exec_lo, exec_lo, s14
	s_cbranch_execz .LBB16_71
.LBB16_944:                             ;   Parent Loop BB16_73 Depth=1
                                        ; =>  This Loop Header: Depth=2
                                        ;       Child Loop BB16_950 Depth 3
                                        ;       Child Loop BB16_974 Depth 3
	;; [unrolled: 1-line block ×3, first 2 shown]
	v_and_b32_e32 v3, 4, v30
	s_mov_b32 s16, exec_lo
	s_delay_alu instid0(VALU_DEP_1)
	v_cmpx_ne_u32_e32 0, v3
	s_cbranch_execz .LBB16_966
; %bb.945:                              ;   in Loop: Header=BB16_944 Depth=2
	v_add_nc_u64_e32 v[4:5], 2, v[98:99]
	s_mov_b32 s17, exec_lo
	s_wait_loadcnt_dscnt 0x1
	s_delay_alu instid0(VALU_DEP_1)
	v_cmpx_lt_u64_e64 v[36:37], v[4:5]
	s_cbranch_execz .LBB16_957
; %bb.946:                              ;   in Loop: Header=BB16_944 Depth=2
	v_and_b32_e32 v3, 64, v30
	s_mov_b32 s28, 0
	s_mov_b32 s42, 0
                                        ; implicit-def: $sgpr29
                                        ; implicit-def: $sgpr40
                                        ; implicit-def: $sgpr41
	s_delay_alu instid0(VALU_DEP_1)
	v_cmp_eq_u32_e32 vcc_lo, 0, v3
	s_branch .LBB16_950
.LBB16_947:                             ;   in Loop: Header=BB16_950 Depth=3
	s_wait_loadcnt_dscnt 0x0
	v_cmp_ge_u64_e64 s12, v[36:37], v[4:5]
	s_or_b32 s45, s45, exec_lo
	s_or_not1_b32 s44, s12, exec_lo
.LBB16_948:                             ;   in Loop: Header=BB16_950 Depth=3
	s_or_b32 exec_lo, exec_lo, s47
	s_delay_alu instid0(SALU_CYCLE_1)
	s_and_not1_b32 s12, s41, exec_lo
	s_and_b32 s41, s45, exec_lo
	s_and_not1_b32 s40, s40, exec_lo
	s_and_b32 s44, s44, exec_lo
	s_or_b32 s41, s12, s41
	s_or_b32 s40, s40, s44
.LBB16_949:                             ;   in Loop: Header=BB16_950 Depth=3
	s_or_b32 exec_lo, exec_lo, s43
	s_delay_alu instid0(SALU_CYCLE_1) | instskip(NEXT) | instid1(SALU_CYCLE_1)
	s_and_b32 s12, exec_lo, s40
	s_or_b32 s28, s12, s28
	s_and_not1_b32 s12, s29, exec_lo
	s_and_b32 s29, s41, exec_lo
	s_delay_alu instid0(SALU_CYCLE_1)
	s_or_b32 s29, s12, s29
	s_and_not1_b32 exec_lo, exec_lo, s28
	s_cbranch_execz .LBB16_954
.LBB16_950:                             ;   Parent Loop BB16_73 Depth=1
                                        ;     Parent Loop BB16_944 Depth=2
                                        ; =>    This Inner Loop Header: Depth=3
	s_sleep 1
	s_wait_loadcnt_dscnt 0x0
	flat_load_b64 v[36:37], v[26:27] scope:SCOPE_SYS
	s_or_b32 s41, s41, exec_lo
	s_or_b32 s40, s40, exec_lo
                                        ; implicit-def: $vgpr3
	s_wait_xcnt 0x0
	s_and_saveexec_b32 s43, vcc_lo
	s_cbranch_execz .LBB16_949
; %bb.951:                              ;   in Loop: Header=BB16_950 Depth=3
	s_cmp_lt_i32 s42, 0x270f
	s_mov_b32 s44, -1
	s_cselect_b32 s46, -1, 0
	s_cmp_gt_i32 s42, 0x270e
	s_cbranch_scc0 .LBB16_953
; %bb.952:                              ;   in Loop: Header=BB16_950 Depth=3
	s_trap 2
	ds_load_b64 v[22:23], v0
	s_and_not1_b32 s42, s46, exec_lo
	s_mov_b32 s45, 0
	s_wait_storecnt 0x0
	s_wait_loadcnt_dscnt 0x0
	flat_load_b32 v3, v[22:23] scope:SCOPE_SYS
	s_wait_loadcnt_dscnt 0x0
	global_inv scope:SCOPE_SYS
	v_cmp_eq_u32_e64 s12, 0, v3
	s_and_b32 s12, s12, exec_lo
	s_delay_alu instid0(SALU_CYCLE_1)
	s_or_b32 s46, s42, s12
	s_mov_b32 s42, 0
	s_and_saveexec_b32 s47, s46
	s_cbranch_execz .LBB16_948
	s_branch .LBB16_947
.LBB16_953:                             ;   in Loop: Header=BB16_950 Depth=3
	s_add_co_i32 s42, s42, 1
	s_mov_b32 s45, -1
                                        ; implicit-def: $vgpr3
	s_and_saveexec_b32 s47, s46
	s_cbranch_execz .LBB16_948
	s_branch .LBB16_947
.LBB16_954:                             ;   in Loop: Header=BB16_944 Depth=2
	s_or_b32 exec_lo, exec_lo, s28
	s_xor_b32 s12, s29, -1
	s_delay_alu instid0(SALU_CYCLE_1) | instskip(NEXT) | instid1(SALU_CYCLE_1)
	s_and_saveexec_b32 s28, s12
	s_xor_b32 s12, exec_lo, s28
	s_cbranch_execz .LBB16_956
; %bb.955:                              ;   in Loop: Header=BB16_944 Depth=2
	v_or_b32_e32 v30, 64, v30
	s_wait_storecnt 0x0
	s_wait_loadcnt_dscnt 0x0
	ds_store_b32 v0, v3
	s_trap 2
.LBB16_956:                             ;   in Loop: Header=BB16_944 Depth=2
	s_or_b32 exec_lo, exec_lo, s12
.LBB16_957:                             ;   in Loop: Header=BB16_944 Depth=2
	s_delay_alu instid0(SALU_CYCLE_1)
	s_or_b32 exec_lo, exec_lo, s17
	v_and_b32_e32 v3, 0x100, v30
	v_and_b32_e32 v48, 7, v98
	s_mov_b32 s12, -1
	s_mov_b32 s17, exec_lo
	;;#ASMSTART
	s_wakeup
	;;#ASMEND
                                        ; implicit-def: $vgpr98_vgpr99
	v_cmpx_ne_u32_e32 0, v3
	s_cbranch_execz .LBB16_961
; %bb.958:                              ;   in Loop: Header=BB16_944 Depth=2
	v_mad_nc_u64_u32 v[100:101], v48, 24, v[12:13]
	s_mov_b32 s28, exec_lo
                                        ; implicit-def: $vgpr98_vgpr99
	flat_load_b32 v3, v[100:101]
	s_wait_loadcnt_dscnt 0x0
	v_cmp_ne_u32_e32 vcc_lo, 1, v3
	s_wait_xcnt 0x0
	v_cmpx_eq_u32_e32 1, v3
	s_cbranch_execz .LBB16_960
; %bb.959:                              ;   in Loop: Header=BB16_944 Depth=2
	flat_load_b32 v98, v[100:101] offset:4 scope:SCOPE_SYS
	s_wait_loadcnt_dscnt 0x0
	v_ashrrev_i32_e32 v99, 31, v98
.LBB16_960:                             ;   in Loop: Header=BB16_944 Depth=2
	s_wait_xcnt 0x0
	s_or_b32 exec_lo, exec_lo, s28
	s_delay_alu instid0(SALU_CYCLE_1)
	s_or_not1_b32 s12, vcc_lo, exec_lo
.LBB16_961:                             ;   in Loop: Header=BB16_944 Depth=2
	s_or_b32 exec_lo, exec_lo, s17
	s_and_saveexec_b32 s17, s12
; %bb.962:                              ;   in Loop: Header=BB16_944 Depth=2
	v_mul_u64_e32 v[98:99], v[48:49], v[28:29]
; %bb.963:                              ;   in Loop: Header=BB16_944 Depth=2
	s_or_b32 exec_lo, exec_lo, s17
	s_delay_alu instid0(VALU_DEP_1)
	v_add_nc_u64_e32 v[22:23], v[32:33], v[98:99]
	v_and_b32_e32 v3, 0x2000, v30
	s_mov_b32 s12, exec_lo
	ds_store_b64 v0, v[22:23] offset:720
	v_cmpx_ne_u32_e32 0, v3
	s_cbranch_execz .LBB16_965
; %bb.964:                              ;   in Loop: Header=BB16_944 Depth=2
	ds_load_b64 v[22:23], v0 offset:872
	s_wait_dscnt 0x0
	v_add_nc_u64_e32 v[22:23], 1, v[22:23]
	ds_store_b64 v0, v[22:23] offset:872
.LBB16_965:                             ;   in Loop: Header=BB16_944 Depth=2
	s_or_b32 exec_lo, exec_lo, s12
	v_mov_b64_e32 v[98:99], v[4:5]
.LBB16_966:                             ;   in Loop: Header=BB16_944 Depth=2
	s_or_b32 exec_lo, exec_lo, s16
	s_xor_b32 s12, s15, -1
	s_delay_alu instid0(SALU_CYCLE_1) | instskip(NEXT) | instid1(SALU_CYCLE_1)
	s_and_b32 s12, exec_lo, s12
	s_or_b32 s14, s12, s14
	s_and_saveexec_b32 s12, s1
	s_cbranch_execz .LBB16_985
; %bb.967:                              ;   in Loop: Header=BB16_944 Depth=2
	s_and_saveexec_b32 s15, s2
	s_delay_alu instid0(SALU_CYCLE_1)
	s_xor_b32 s15, exec_lo, s15
	s_cbranch_execz .LBB16_982
; %bb.968:                              ;   in Loop: Header=BB16_944 Depth=2
	s_and_saveexec_b32 s16, s5
	s_cbranch_execz .LBB16_981
; %bb.969:                              ;   in Loop: Header=BB16_944 Depth=2
	s_mov_b32 s28, exec_lo
	s_mov_b32 s17, exec_lo
	v_mbcnt_lo_u32_b32 v3, s28, 0
	global_wb scope:SCOPE_DEV
	s_wait_storecnt 0x0
	s_wait_loadcnt_dscnt 0x0
	global_inv scope:SCOPE_DEV
	v_cmpx_eq_u32_e32 0, v3
	s_cbranch_execz .LBB16_971
; %bb.970:                              ;   in Loop: Header=BB16_944 Depth=2
	s_bcnt1_i32_b32 s28, s28
	s_delay_alu instid0(SALU_CYCLE_1)
	v_mov_b32_e32 v48, s28
	s_wait_loadcnt 0x0
	ds_add_u64 v0, v[48:49]
	s_trap 2
.LBB16_971:                             ;   in Loop: Header=BB16_944 Depth=2
	s_or_b32 exec_lo, exec_lo, s17
	s_trap 2
	ds_load_b64 v[4:5], v0
	s_wait_dscnt 0x0
	v_add_nc_u64_e32 v[14:15], v[14:15], v[50:51]
	s_mov_b32 s17, exec_lo
	s_delay_alu instid0(VALU_DEP_1)
	v_cmpx_lt_u64_e64 v[4:5], v[14:15]
	s_cbranch_execz .LBB16_980
; %bb.972:                              ;   in Loop: Header=BB16_944 Depth=2
	s_mov_b32 s28, 0
	s_mov_b32 s41, 0
                                        ; implicit-def: $sgpr29
                                        ; implicit-def: $sgpr40
	s_branch .LBB16_974
.LBB16_973:                             ;   in Loop: Header=BB16_974 Depth=3
	s_or_b32 exec_lo, exec_lo, s43
	s_delay_alu instid0(SALU_CYCLE_1) | instskip(NEXT) | instid1(SALU_CYCLE_1)
	s_and_b32 s42, exec_lo, s44
	s_or_b32 s28, s42, s28
	s_and_not1_b32 s29, s29, exec_lo
	s_and_b32 s42, s40, exec_lo
	s_delay_alu instid0(SALU_CYCLE_1)
	s_or_b32 s29, s29, s42
	s_and_not1_b32 exec_lo, exec_lo, s28
	s_cbranch_execz .LBB16_978
.LBB16_974:                             ;   Parent Loop BB16_73 Depth=1
                                        ;     Parent Loop BB16_944 Depth=2
                                        ; =>    This Inner Loop Header: Depth=3
	s_add_co_i32 s41, s41, 1
	s_delay_alu instid0(SALU_CYCLE_1) | instskip(SKIP_1) | instid1(SALU_CYCLE_1)
	s_cmp_lg_u32 s41, 0x2710
	s_cselect_b32 s42, -1, 0
	s_and_b32 vcc_lo, exec_lo, s42
	s_cbranch_vccz .LBB16_976
; %bb.975:                              ;   in Loop: Header=BB16_974 Depth=3
	s_mov_b32 s44, -1
	s_or_b32 s40, s40, exec_lo
	s_and_saveexec_b32 s43, s42
	s_cbranch_execz .LBB16_973
	s_branch .LBB16_977
.LBB16_976:                             ;   in Loop: Header=BB16_974 Depth=3
	s_trap 2
	ds_load_b64 v[4:5], v0
	s_and_not1_b32 s42, s42, exec_lo
	s_mov_b32 s41, 0
	s_wait_loadcnt_dscnt 0x0
	flat_load_b32 v3, v[4:5] scope:SCOPE_SYS
	s_wait_loadcnt_dscnt 0x0
	global_inv scope:SCOPE_SYS
	v_cmp_eq_u32_e32 vcc_lo, 0, v3
	s_and_b32 s43, vcc_lo, exec_lo
	s_delay_alu instid0(SALU_CYCLE_1)
	s_or_b32 s42, s42, s43
	s_mov_b32 s44, -1
	s_or_b32 s40, s40, exec_lo
	s_and_saveexec_b32 s43, s42
	s_cbranch_execz .LBB16_973
.LBB16_977:                             ;   in Loop: Header=BB16_974 Depth=3
	s_sleep 1
	s_trap 2
	ds_load_b64 v[4:5], v0
	s_wait_dscnt 0x0
	s_and_not1_b32 s40, s40, exec_lo
	v_cmp_ge_u64_e32 vcc_lo, v[4:5], v[14:15]
	s_or_not1_b32 s44, vcc_lo, exec_lo
	s_branch .LBB16_973
.LBB16_978:                             ;   in Loop: Header=BB16_944 Depth=2
	s_or_b32 exec_lo, exec_lo, s28
	s_and_saveexec_b32 s28, s29
	s_delay_alu instid0(SALU_CYCLE_1)
	s_xor_b32 s28, exec_lo, s28
	s_cbranch_execz .LBB16_980
; %bb.979:                              ;   in Loop: Header=BB16_944 Depth=2
	ds_store_b32 v0, v58
	s_trap 2
.LBB16_980:                             ;   in Loop: Header=BB16_944 Depth=2
	s_or_b32 exec_lo, exec_lo, s17
	;;#ASMSTART
	s_wakeup
	;;#ASMEND
.LBB16_981:                             ;   in Loop: Header=BB16_944 Depth=2
	s_or_b32 exec_lo, exec_lo, s16
.LBB16_982:                             ;   in Loop: Header=BB16_944 Depth=2
	s_and_not1_saveexec_b32 s15, s15
	s_cbranch_execz .LBB16_984
; %bb.983:                              ;   in Loop: Header=BB16_944 Depth=2
	global_wb scope:SCOPE_DEV
	s_wait_storecnt 0x0
	s_wait_loadcnt_dscnt 0x0
	global_inv scope:SCOPE_DEV
	s_barrier_signal -1
	s_barrier_wait -1
.LBB16_984:                             ;   in Loop: Header=BB16_944 Depth=2
	s_or_b32 exec_lo, exec_lo, s15
.LBB16_985:                             ;   in Loop: Header=BB16_944 Depth=2
	s_delay_alu instid0(SALU_CYCLE_1) | instskip(SKIP_1) | instid1(VALU_DEP_1)
	s_or_b32 exec_lo, exec_lo, s12
	v_sub_nc_u32_e32 v3, v63, v2
	v_min_i32_e32 v72, v72, v3
	s_and_saveexec_b32 s12, s10
	s_delay_alu instid0(SALU_CYCLE_1)
	s_xor_b32 s15, exec_lo, s12
	s_cbranch_execz .LBB16_989
; %bb.986:                              ;   in Loop: Header=BB16_944 Depth=2
	s_trap 2
	ds_load_b32 v3, v0
	v_cmp_lt_i32_e32 vcc_lo, 0, v72
	s_wait_dscnt 0x0
	v_readfirstlane_b32 s12, v3
	v_and_b32_e32 v3, 16, v30
	s_cmp_eq_u32 s12, 0
	s_delay_alu instid0(VALU_DEP_1) | instskip(SKIP_1) | instid1(SALU_CYCLE_1)
	v_cmp_ne_u32_e64 s12, 0, v3
	s_cselect_b32 s16, -1, 0
	s_and_b32 s16, vcc_lo, s16
	s_delay_alu instid0(SALU_CYCLE_1) | instskip(NEXT) | instid1(SALU_CYCLE_1)
	s_and_b32 s16, s12, s16
	s_and_saveexec_b32 s12, s16
	s_cbranch_execz .LBB16_988
; %bb.987:                              ;   in Loop: Header=BB16_944 Depth=2
	global_wb scope:SCOPE_SYS
	s_wait_loadcnt 0x0
	s_wait_storecnt 0x0
	global_inv scope:SCOPE_SYS
.LBB16_988:                             ;   in Loop: Header=BB16_944 Depth=2
	s_or_b32 exec_lo, exec_lo, s12
.LBB16_989:                             ;   in Loop: Header=BB16_944 Depth=2
	s_and_not1_saveexec_b32 s12, s15
	s_cbranch_execz .LBB16_1008
; %bb.990:                              ;   in Loop: Header=BB16_944 Depth=2
	s_and_saveexec_b32 s15, s2
	s_delay_alu instid0(SALU_CYCLE_1)
	s_xor_b32 s15, exec_lo, s15
	s_cbranch_execz .LBB16_1005
; %bb.991:                              ;   in Loop: Header=BB16_944 Depth=2
	s_and_saveexec_b32 s16, s5
	s_cbranch_execz .LBB16_1004
; %bb.992:                              ;   in Loop: Header=BB16_944 Depth=2
	s_mov_b32 s28, exec_lo
	s_mov_b32 s17, exec_lo
	v_mbcnt_lo_u32_b32 v3, s28, 0
	;;#ASMSTART
	s_waitcnt lgkmcnt(0) vmcnt(0)
	;;#ASMEND
	s_delay_alu instid0(VALU_DEP_1)
	v_cmpx_eq_u32_e32 0, v3
	s_cbranch_execz .LBB16_994
; %bb.993:                              ;   in Loop: Header=BB16_944 Depth=2
	s_bcnt1_i32_b32 s28, s28
	s_delay_alu instid0(SALU_CYCLE_1)
	v_mov_b32_e32 v48, s28
	s_wait_storecnt 0x0
	s_wait_loadcnt_dscnt 0x0
	ds_add_u64 v0, v[48:49]
	s_trap 2
.LBB16_994:                             ;   in Loop: Header=BB16_944 Depth=2
	s_or_b32 exec_lo, exec_lo, s17
	s_trap 2
	ds_load_b64 v[4:5], v0
	s_wait_dscnt 0x0
	v_add_nc_u64_e32 v[14:15], v[14:15], v[50:51]
	s_mov_b32 s17, exec_lo
	s_delay_alu instid0(VALU_DEP_1)
	v_cmpx_lt_u64_e64 v[4:5], v[14:15]
	s_cbranch_execz .LBB16_1003
; %bb.995:                              ;   in Loop: Header=BB16_944 Depth=2
	s_mov_b32 s28, 0
	s_mov_b32 s41, 0
                                        ; implicit-def: $sgpr29
                                        ; implicit-def: $sgpr40
	s_branch .LBB16_997
.LBB16_996:                             ;   in Loop: Header=BB16_997 Depth=3
	s_or_b32 exec_lo, exec_lo, s43
	s_delay_alu instid0(SALU_CYCLE_1) | instskip(NEXT) | instid1(SALU_CYCLE_1)
	s_and_b32 s42, exec_lo, s44
	s_or_b32 s28, s42, s28
	s_and_not1_b32 s29, s29, exec_lo
	s_and_b32 s42, s40, exec_lo
	s_delay_alu instid0(SALU_CYCLE_1)
	s_or_b32 s29, s29, s42
	s_and_not1_b32 exec_lo, exec_lo, s28
	s_cbranch_execz .LBB16_1001
.LBB16_997:                             ;   Parent Loop BB16_73 Depth=1
                                        ;     Parent Loop BB16_944 Depth=2
                                        ; =>    This Inner Loop Header: Depth=3
	s_add_co_i32 s41, s41, 1
	s_delay_alu instid0(SALU_CYCLE_1) | instskip(SKIP_1) | instid1(SALU_CYCLE_1)
	s_cmp_lg_u32 s41, 0x2710
	s_cselect_b32 s42, -1, 0
	s_and_b32 vcc_lo, exec_lo, s42
	s_cbranch_vccz .LBB16_999
; %bb.998:                              ;   in Loop: Header=BB16_997 Depth=3
	s_mov_b32 s44, -1
	s_or_b32 s40, s40, exec_lo
	s_and_saveexec_b32 s43, s42
	s_cbranch_execz .LBB16_996
	s_branch .LBB16_1000
.LBB16_999:                             ;   in Loop: Header=BB16_997 Depth=3
	s_trap 2
	ds_load_b64 v[4:5], v0
	s_and_not1_b32 s42, s42, exec_lo
	s_mov_b32 s41, 0
	s_wait_storecnt 0x0
	s_wait_loadcnt_dscnt 0x0
	flat_load_b32 v3, v[4:5] scope:SCOPE_SYS
	s_wait_loadcnt_dscnt 0x0
	global_inv scope:SCOPE_SYS
	v_cmp_eq_u32_e32 vcc_lo, 0, v3
	s_and_b32 s43, vcc_lo, exec_lo
	s_delay_alu instid0(SALU_CYCLE_1)
	s_or_b32 s42, s42, s43
	s_mov_b32 s44, -1
	s_or_b32 s40, s40, exec_lo
	s_and_saveexec_b32 s43, s42
	s_cbranch_execz .LBB16_996
.LBB16_1000:                            ;   in Loop: Header=BB16_997 Depth=3
	s_sleep 1
	s_trap 2
	ds_load_b64 v[4:5], v0
	s_wait_dscnt 0x0
	s_and_not1_b32 s40, s40, exec_lo
	v_cmp_ge_u64_e32 vcc_lo, v[4:5], v[14:15]
	s_or_not1_b32 s44, vcc_lo, exec_lo
	s_branch .LBB16_996
.LBB16_1001:                            ;   in Loop: Header=BB16_944 Depth=2
	s_or_b32 exec_lo, exec_lo, s28
	s_and_saveexec_b32 s28, s29
	s_delay_alu instid0(SALU_CYCLE_1)
	s_xor_b32 s28, exec_lo, s28
	s_cbranch_execz .LBB16_1003
; %bb.1002:                             ;   in Loop: Header=BB16_944 Depth=2
	ds_store_b32 v0, v58
	s_trap 2
.LBB16_1003:                            ;   in Loop: Header=BB16_944 Depth=2
	s_or_b32 exec_lo, exec_lo, s17
	;;#ASMSTART
	s_wakeup
	;;#ASMEND
.LBB16_1004:                            ;   in Loop: Header=BB16_944 Depth=2
	s_or_b32 exec_lo, exec_lo, s16
.LBB16_1005:                            ;   in Loop: Header=BB16_944 Depth=2
	s_and_not1_saveexec_b32 s15, s15
	s_cbranch_execz .LBB16_1007
; %bb.1006:                             ;   in Loop: Header=BB16_944 Depth=2
	;;#ASMSTART
	s_waitcnt lgkmcnt(0) vmcnt(0)
	;;#ASMEND
	s_barrier_signal -1
	s_barrier_wait -1
.LBB16_1007:                            ;   in Loop: Header=BB16_944 Depth=2
	s_or_b32 exec_lo, exec_lo, s15
.LBB16_1008:                            ;   in Loop: Header=BB16_944 Depth=2
	s_delay_alu instid0(SALU_CYCLE_1) | instskip(SKIP_2) | instid1(VALU_DEP_1)
	s_or_b32 exec_lo, exec_lo, s12
	v_and_b32_e32 v3, 32, v30
	s_mov_b32 s12, exec_lo
	v_cmpx_ne_u32_e32 0, v3
	s_cbranch_execz .LBB16_943
; %bb.1009:                             ;   in Loop: Header=BB16_944 Depth=2
	v_add_nc_u64_e32 v[98:99], 2, v[98:99]
	global_wb scope:SCOPE_SYS
	s_wait_storecnt 0x0
	s_wait_loadcnt_dscnt 0x0
	flat_store_b64 v[26:27], v[98:99] scope:SCOPE_SYS
	s_branch .LBB16_943
.LBB16_1010:
	s_or_b32 exec_lo, exec_lo, s22
.LBB16_1011:
	s_delay_alu instid0(SALU_CYCLE_1) | instskip(SKIP_2) | instid1(VALU_DEP_1)
	s_or_b32 exec_lo, exec_lo, s20
	v_and_b32_e32 v0, 0x800, v30
	s_mov_b32 s1, exec_lo
	v_cmpx_eq_u32_e32 0, v0
	s_cbranch_execz .LBB16_1044
; %bb.1012:
	v_and_b32_e32 v0, 48, v30
	s_mov_b32 s0, exec_lo
	s_delay_alu instid0(VALU_DEP_1)
	v_cmpx_ne_u32_e32 0, v0
	s_cbranch_execz .LBB16_1014
; %bb.1013:
	flat_store_b64 v[124:125], v[98:99] offset:104
.LBB16_1014:
	s_wait_xcnt 0x0
	s_or_b32 exec_lo, exec_lo, s0
	v_and_b32_e32 v0, 0x88, v30
	s_mov_b32 s2, exec_lo
	s_delay_alu instid0(VALU_DEP_1)
	v_cmpx_eq_u32_e32 0x88, v0
	s_cbranch_execz .LBB16_1024
; %bb.1015:
	v_add_nc_u32_e32 v0, 6, v98
	s_mov_b32 s3, 0
	s_delay_alu instid0(VALU_DEP_1) | instskip(NEXT) | instid1(VALU_DEP_1)
	v_and_b32_e32 v0, 7, v0
	v_mad_nc_u64_u32 v[2:3], v0, 24, v[12:13]
	v_and_b32_e32 v0, 64, v30
	s_delay_alu instid0(VALU_DEP_1)
	v_cmp_eq_u32_e64 s0, 0, v0
	flat_load_b64 v[4:5], v[2:3] offset:8 scope:SCOPE_SYS
	s_wait_loadcnt_dscnt 0x0
	v_cmp_ne_u64_e32 vcc_lo, -1, v[4:5]
	s_and_b32 s0, vcc_lo, s0
	s_wait_xcnt 0x0
	s_and_b32 exec_lo, exec_lo, s0
	s_cbranch_execz .LBB16_1024
; %bb.1016:
	s_mov_b32 s5, 0
                                        ; implicit-def: $sgpr0
                                        ; implicit-def: $sgpr4
	s_branch .LBB16_1019
.LBB16_1017:                            ;   in Loop: Header=BB16_1019 Depth=1
	flat_load_b64 v[4:5], v[2:3] offset:8 scope:SCOPE_SYS
	s_wait_loadcnt 0x0
	s_and_not1_b32 s4, s4, exec_lo
	s_wait_dscnt 0x0
	v_cmp_eq_u64_e32 vcc_lo, -1, v[4:5]
	s_or_not1_b32 s7, vcc_lo, exec_lo
.LBB16_1018:                            ;   in Loop: Header=BB16_1019 Depth=1
	s_wait_xcnt 0x0
	s_or_b32 exec_lo, exec_lo, s10
	s_delay_alu instid0(SALU_CYCLE_1) | instskip(NEXT) | instid1(SALU_CYCLE_1)
	s_and_b32 s6, exec_lo, s7
	s_or_b32 s3, s6, s3
	s_and_not1_b32 s0, s0, exec_lo
	s_and_b32 s6, s4, exec_lo
	s_delay_alu instid0(SALU_CYCLE_1)
	s_or_b32 s0, s0, s6
	s_and_not1_b32 exec_lo, exec_lo, s3
	s_cbranch_execz .LBB16_1022
.LBB16_1019:                            ; =>This Inner Loop Header: Depth=1
	s_cmp_lt_i32 s5, 0x270f
	s_cselect_b32 s6, -1, 0
	s_delay_alu instid0(SALU_CYCLE_1)
	s_and_b32 vcc_lo, exec_lo, s6
	s_cbranch_vccnz .LBB16_1021
; %bb.1020:                             ;   in Loop: Header=BB16_1019 Depth=1
	s_trap 2
	ds_load_b64 v[4:5], v0
	s_and_not1_b32 s6, s6, exec_lo
	s_mov_b32 s5, 0
	s_wait_storecnt_dscnt 0x0
	flat_load_b32 v0, v[4:5] scope:SCOPE_SYS
	s_wait_loadcnt_dscnt 0x0
	global_inv scope:SCOPE_SYS
	v_cmp_eq_u32_e32 vcc_lo, 0, v0
	s_and_b32 s7, vcc_lo, exec_lo
	s_delay_alu instid0(SALU_CYCLE_1)
	s_or_b32 s6, s6, s7
	s_mov_b32 s7, -1
	s_or_b32 s4, s4, exec_lo
	s_wait_xcnt 0x0
	s_and_saveexec_b32 s10, s6
	s_cbranch_execz .LBB16_1018
	s_branch .LBB16_1017
.LBB16_1021:                            ;   in Loop: Header=BB16_1019 Depth=1
	s_add_co_i32 s5, s5, 1
                                        ; implicit-def: $vgpr0
	s_mov_b32 s7, -1
	s_or_b32 s4, s4, exec_lo
	s_and_saveexec_b32 s10, s6
	s_cbranch_execz .LBB16_1018
	s_branch .LBB16_1017
.LBB16_1022:
	s_or_b32 exec_lo, exec_lo, s3
	s_and_saveexec_b32 s3, s0
	s_delay_alu instid0(SALU_CYCLE_1)
	s_xor_b32 s3, exec_lo, s3
	s_cbranch_execz .LBB16_1024
; %bb.1023:
	s_wait_loadcnt 0x0
	s_wait_storecnt 0x0
	ds_store_b32 v0, v0
	s_trap 2
.LBB16_1024:
	s_or_b32 exec_lo, exec_lo, s2
	v_and_b32_e32 v0, 0x2000, v30
	s_mov_b32 s0, exec_lo
	s_delay_alu instid0(VALU_DEP_1)
	v_cmpx_ne_u32_e32 0, v0
	s_cbranch_execz .LBB16_1026
; %bb.1025:
	s_trap 2
	ds_load_b64 v[2:3], v0
	s_wait_dscnt 0x0
	flat_store_b64 v[78:79], v[2:3] offset:16
.LBB16_1026:
	s_wait_xcnt 0x0
	s_or_b32 exec_lo, exec_lo, s0
	v_cmp_ne_u32_e32 vcc_lo, 32, v1
	s_and_b32 exec_lo, exec_lo, vcc_lo
	s_cbranch_execz .LBB16_1044
; %bb.1027:
	s_mov_b32 s0, exec_lo
	v_cmpx_ne_u32_e64 v1, v56
	s_xor_b32 s0, exec_lo, s0
	s_cbranch_execz .LBB16_1042
; %bb.1028:
	v_and_b32_e32 v0, 31, v31
	s_mov_b32 s2, exec_lo
	s_delay_alu instid0(VALU_DEP_1)
	v_cmpx_eq_u32_e32 0, v0
	s_cbranch_execz .LBB16_1041
; %bb.1029:
	s_mov_b32 s4, exec_lo
	s_mov_b32 s3, exec_lo
	v_mbcnt_lo_u32_b32 v0, s4, 0
	global_wb scope:SCOPE_DEV
	s_wait_storecnt 0x0
	s_wait_loadcnt_dscnt 0x0
	global_inv scope:SCOPE_DEV
	v_cmpx_eq_u32_e32 0, v0
	s_cbranch_execz .LBB16_1031
; %bb.1030:
	s_bcnt1_i32_b32 s4, s4
	s_delay_alu instid0(SALU_CYCLE_1)
	v_dual_mov_b32 v3, 0 :: v_dual_mov_b32 v2, s4
	s_wait_loadcnt 0x0
	ds_add_u64 v0, v[2:3]
	s_trap 2
.LBB16_1031:
	s_or_b32 exec_lo, exec_lo, s3
	s_trap 2
	ds_load_b64 v[2:3], v0
	s_wait_dscnt 0x0
	v_dual_mov_b32 v1, 0 :: v_dual_lshrrev_b32 v0, 5, v1
	s_mov_b32 s3, exec_lo
	s_delay_alu instid0(VALU_DEP_1) | instskip(NEXT) | instid1(VALU_DEP_1)
	v_add_nc_u64_e32 v[0:1], v[14:15], v[0:1]
	v_cmpx_lt_u64_e64 v[2:3], v[0:1]
	s_cbranch_execz .LBB16_1040
; %bb.1032:
	s_mov_b32 s4, 0
	s_mov_b32 s7, 0
                                        ; implicit-def: $sgpr5
                                        ; implicit-def: $sgpr6
	s_branch .LBB16_1034
.LBB16_1033:                            ;   in Loop: Header=BB16_1034 Depth=1
	s_or_b32 exec_lo, exec_lo, s11
	s_delay_alu instid0(SALU_CYCLE_1) | instskip(NEXT) | instid1(SALU_CYCLE_1)
	s_and_b32 s10, exec_lo, s12
	s_or_b32 s4, s10, s4
	s_and_not1_b32 s5, s5, exec_lo
	s_and_b32 s10, s6, exec_lo
	s_delay_alu instid0(SALU_CYCLE_1)
	s_or_b32 s5, s5, s10
	s_and_not1_b32 exec_lo, exec_lo, s4
	s_cbranch_execz .LBB16_1038
.LBB16_1034:                            ; =>This Inner Loop Header: Depth=1
	s_add_co_i32 s7, s7, 1
	s_delay_alu instid0(SALU_CYCLE_1) | instskip(SKIP_1) | instid1(SALU_CYCLE_1)
	s_cmp_lg_u32 s7, 0x2710
	s_cselect_b32 s10, -1, 0
	s_and_b32 vcc_lo, exec_lo, s10
	s_cbranch_vccz .LBB16_1036
; %bb.1035:                             ;   in Loop: Header=BB16_1034 Depth=1
	s_mov_b32 s12, -1
	s_or_b32 s6, s6, exec_lo
	s_and_saveexec_b32 s11, s10
	s_cbranch_execz .LBB16_1033
	s_branch .LBB16_1037
.LBB16_1036:                            ;   in Loop: Header=BB16_1034 Depth=1
	s_trap 2
	ds_load_b64 v[2:3], v0
	s_and_not1_b32 s10, s10, exec_lo
	s_mov_b32 s7, 0
	s_wait_loadcnt_dscnt 0x0
	flat_load_b32 v2, v[2:3] scope:SCOPE_SYS
	s_wait_loadcnt_dscnt 0x0
	global_inv scope:SCOPE_SYS
	v_cmp_eq_u32_e32 vcc_lo, 0, v2
	s_and_b32 s11, vcc_lo, exec_lo
	s_delay_alu instid0(SALU_CYCLE_1)
	s_or_b32 s10, s10, s11
	s_mov_b32 s12, -1
	s_or_b32 s6, s6, exec_lo
	s_and_saveexec_b32 s11, s10
	s_cbranch_execz .LBB16_1033
.LBB16_1037:                            ;   in Loop: Header=BB16_1034 Depth=1
	s_sleep 1
	s_trap 2
	ds_load_b64 v[2:3], v0
	s_wait_dscnt 0x0
	s_and_not1_b32 s6, s6, exec_lo
	v_cmp_ge_u64_e32 vcc_lo, v[2:3], v[0:1]
	s_or_not1_b32 s12, vcc_lo, exec_lo
	s_branch .LBB16_1033
.LBB16_1038:
	s_or_b32 exec_lo, exec_lo, s4
	s_and_saveexec_b32 s4, s5
	s_delay_alu instid0(SALU_CYCLE_1)
	s_xor_b32 s4, exec_lo, s4
	s_cbranch_execz .LBB16_1040
; %bb.1039:
	v_mov_b32_e32 v0, 1
	ds_store_b32 v0, v0
	s_trap 2
.LBB16_1040:
	s_or_b32 exec_lo, exec_lo, s3
	;;#ASMSTART
	s_wakeup
	;;#ASMEND
.LBB16_1041:
	s_or_b32 exec_lo, exec_lo, s2
.LBB16_1042:
	s_and_not1_saveexec_b32 s0, s0
	s_cbranch_execz .LBB16_1044
; %bb.1043:
	global_wb scope:SCOPE_DEV
	s_wait_storecnt 0x0
	s_wait_loadcnt_dscnt 0x0
	global_inv scope:SCOPE_DEV
	s_barrier_signal -1
	s_barrier_wait -1
.LBB16_1044:
	s_or_b32 exec_lo, exec_lo, s1
.LBB16_1045:
	s_and_not1_saveexec_b32 s22, s19
	s_cbranch_execz .LBB16_1047
; %bb.1046:
	s_get_pc_i64 s[0:1]
	s_add_nc_u64 s[0:1], s[0:1], __PRETTY_FUNCTION__._ZN10PrimitivesIa7FuncSumIaE12FanSymmetricILi1EELi0E11ProtoSimpleILi2ELi2ELi0ELi4ELi0ELi0EELi0ELb0ELi0ELi0ELi0EEC2EiiPKiS8_PKvPvmhhhP15ncclDevWorkCollP14ncclDevWorkP2pii@rel64+4
	s_get_pc_i64 s[2:3]
	s_add_nc_u64 s[2:3], s[2:3], __assert_fail@rel64+4
	v_dual_mov_b32 v0, s0 :: v_dual_mov_b32 v1, s1
	s_swap_pc_i64 s[30:31], s[2:3]
	; divergent unreachable
.LBB16_1047:
	s_or_b32 exec_lo, exec_lo, s22
.LBB16_1048:
	s_delay_alu instid0(SALU_CYCLE_1)
	s_or_b32 exec_lo, exec_lo, s21
	s_clause 0x2e
	scratch_load_b32 v126, off, s33
	scratch_load_b32 v125, off, s33 offset:4
	scratch_load_b32 v124, off, s33 offset:8
	;; [unrolled: 1-line block ×46, first 2 shown]
	v_readlane_b32 s30, v127, 0
	v_readlane_b32 s31, v127, 1
	s_mov_b32 s32, s33
	s_wait_xcnt 0x0
	s_or_saveexec_b32 s0, -1
	scratch_load_b32 v127, off, s33 offset:188 ; 4-byte Folded Reload
	s_wait_xcnt 0x0
	s_mov_b32 exec_lo, s0
	s_mov_b32 s33, s59
	s_wait_loadcnt_dscnt 0x0
	s_set_pc_i64 s[30:31]
.Lfunc_end16:
	.size	_ZN12_GLOBAL__N_17runRingIa7FuncSumIaE11ProtoSimpleILi2ELi2ELi0ELi4ELi0ELi0EELi0ELi4ELi0ELb0EEEviiP15ncclDevWorkColl, .Lfunc_end16-_ZN12_GLOBAL__N_17runRingIa7FuncSumIaE11ProtoSimpleILi2ELi2ELi0ELi4ELi0ELi0EELi0ELi4ELi0ELb0EEEviiP15ncclDevWorkColl
                                        ; -- End function
	.set .L_ZN12_GLOBAL__N_17runRingIa7FuncSumIaE11ProtoSimpleILi2ELi2ELi0ELi4ELi0ELi0EELi0ELi4ELi0ELb0EEEviiP15ncclDevWorkColl.num_vgpr, max(128, .L__assert_fail.num_vgpr)
	.set .L_ZN12_GLOBAL__N_17runRingIa7FuncSumIaE11ProtoSimpleILi2ELi2ELi0ELi4ELi0ELi0EELi0ELi4ELi0ELb0EEEviiP15ncclDevWorkColl.num_agpr, max(0, .L__assert_fail.num_agpr)
	.set .L_ZN12_GLOBAL__N_17runRingIa7FuncSumIaE11ProtoSimpleILi2ELi2ELi0ELi4ELi0ELi0EELi0ELi4ELi0ELb0EEEviiP15ncclDevWorkColl.numbered_sgpr, max(60, .L__assert_fail.numbered_sgpr)
	.set .L_ZN12_GLOBAL__N_17runRingIa7FuncSumIaE11ProtoSimpleILi2ELi2ELi0ELi4ELi0ELi0EELi0ELi4ELi0ELb0EEEviiP15ncclDevWorkColl.num_named_barrier, max(0, .L__assert_fail.num_named_barrier)
	.set .L_ZN12_GLOBAL__N_17runRingIa7FuncSumIaE11ProtoSimpleILi2ELi2ELi0ELi4ELi0ELi0EELi0ELi4ELi0ELb0EEEviiP15ncclDevWorkColl.private_seg_size, 208+max(.L__assert_fail.private_seg_size)
	.set .L_ZN12_GLOBAL__N_17runRingIa7FuncSumIaE11ProtoSimpleILi2ELi2ELi0ELi4ELi0ELi0EELi0ELi4ELi0ELb0EEEviiP15ncclDevWorkColl.uses_vcc, or(1, .L__assert_fail.uses_vcc)
	.set .L_ZN12_GLOBAL__N_17runRingIa7FuncSumIaE11ProtoSimpleILi2ELi2ELi0ELi4ELi0ELi0EELi0ELi4ELi0ELb0EEEviiP15ncclDevWorkColl.uses_flat_scratch, or(1, .L__assert_fail.uses_flat_scratch)
	.set .L_ZN12_GLOBAL__N_17runRingIa7FuncSumIaE11ProtoSimpleILi2ELi2ELi0ELi4ELi0ELi0EELi0ELi4ELi0ELb0EEEviiP15ncclDevWorkColl.has_dyn_sized_stack, or(0, .L__assert_fail.has_dyn_sized_stack)
	.set .L_ZN12_GLOBAL__N_17runRingIa7FuncSumIaE11ProtoSimpleILi2ELi2ELi0ELi4ELi0ELi0EELi0ELi4ELi0ELb0EEEviiP15ncclDevWorkColl.has_recursion, or(1, .L__assert_fail.has_recursion)
	.set .L_ZN12_GLOBAL__N_17runRingIa7FuncSumIaE11ProtoSimpleILi2ELi2ELi0ELi4ELi0ELi0EELi0ELi4ELi0ELb0EEEviiP15ncclDevWorkColl.has_indirect_call, or(0, .L__assert_fail.has_indirect_call)
	.section	.AMDGPU.csdata,"",@progbits
; Function info:
; codeLenInByte = 41860
; TotalNumSgprs: 62
; NumVgprs: 128
; ScratchSize: 272
; MemoryBound: 0
	.text
	.p2align	2                               ; -- Begin function _Z46ncclDevFunc_AllGather_RING_SIMPLE_Sum_i8_0_0_4v
	.type	_Z46ncclDevFunc_AllGather_RING_SIMPLE_Sum_i8_0_0_4v,@function
_Z46ncclDevFunc_AllGather_RING_SIMPLE_Sum_i8_0_0_4v: ; @_Z46ncclDevFunc_AllGather_RING_SIMPLE_Sum_i8_0_0_4v
; %bb.0:
	s_wait_loadcnt_dscnt 0x0
	s_wait_kmcnt 0x0
	s_mov_b32 s75, s33
	s_mov_b32 s33, s32
	s_or_saveexec_b32 s0, -1
	scratch_store_b32 off, v42, s33 offset:12 ; 4-byte Folded Spill
	s_wait_xcnt 0x0
	s_mov_b32 exec_lo, s0
	s_add_co_i32 s32, s32, 32
	s_clause 0x2
	scratch_store_b32 off, v40, s33 offset:8
	; meta instruction
	scratch_store_b32 off, v41, s33 offset:4
	; meta instruction
	scratch_store_b32 off, v127, s33
	v_writelane_b32 v42, s30, 0
	v_writelane_b32 v42, s31, 1
	s_trap 2
	ds_load_b32 v0, v0
	s_wait_xcnt 0x2
	v_mov_b32_e32 v40, v31
	s_wait_dscnt 0x0
	v_cmp_gt_i32_e32 vcc_lo, 1, v0
	s_cbranch_vccnz .LBB17_8
; %bb.1:
	s_wait_xcnt 0x1
	v_and_b32_e32 v41, 0x3ff, v40
	s_mov_b32 s62, s12
	s_mov_b64 s[60:61], s[8:9]
	s_mov_b32 s63, 0
	s_get_pc_i64 s[72:73]
	s_add_nc_u64 s[72:73], s[72:73], _ZN12_GLOBAL__N_17runRingIa7FuncSumIaE11ProtoSimpleILi2ELi2ELi0ELi4ELi0ELi0EELi0ELi4ELi0ELb0EEEviiP15ncclDevWorkColl@rel64+4
	s_branch .LBB17_3
.LBB17_2:                               ;   in Loop: Header=BB17_3 Depth=1
	s_or_b32 exec_lo, exec_lo, s74
	s_trap 2
	ds_load_b32 v0, v0
	s_add_co_i32 s63, s63, 1
	s_wait_dscnt 0x0
	v_cmp_lt_i32_e32 vcc_lo, s63, v0
	s_cbranch_vccz .LBB17_8
.LBB17_3:                               ; =>This Inner Loop Header: Depth=1
	s_trap 2
	ds_load_b32 v0, v0
	s_cmp_eq_u32 s63, 0
	s_cbranch_scc1 .LBB17_6
; %bb.4:                                ;   in Loop: Header=BB17_3 Depth=1
	s_trap 2
	s_wait_dscnt 0x0
	ds_load_b32 v1, v0
	s_wait_dscnt 0x0
	v_xor_b32_e32 v1, v1, v0
	s_delay_alu instid0(VALU_DEP_1) | instskip(NEXT) | instid1(VALU_DEP_1)
	v_and_b32_e32 v1, 0xff0000, v1
	v_cmp_eq_u32_e32 vcc_lo, 0, v1
	s_cbranch_vccnz .LBB17_6
; %bb.5:                                ;   in Loop: Header=BB17_3 Depth=1
	s_wait_storecnt 0x0
	s_barrier_signal -1
	s_barrier_wait -1
	ds_load_b32 v0, v0
.LBB17_6:                               ;   in Loop: Header=BB17_3 Depth=1
	s_wait_dscnt 0x0
	v_lshrrev_b32_e32 v0, 11, v0
	s_mov_b32 s74, exec_lo
	s_delay_alu instid0(VALU_DEP_1) | instskip(SKIP_1) | instid1(VALU_DEP_1)
	v_and_b32_e32 v1, 0x1fe0, v0
	s_wait_xcnt 0x0
	v_cmpx_lt_u32_e64 v41, v1
	s_cbranch_execz .LBB17_2
; %bb.7:                                ;   in Loop: Header=BB17_3 Depth=1
	s_mov_b64 s[0:1], src_shared_base
	v_dual_mov_b32 v31, v40 :: v_dual_mov_b32 v0, v41
	v_mov_b32_e32 v3, s1
	s_mov_b64 s[8:9], s[60:61]
	s_mov_b32 s12, s62
	s_swap_pc_i64 s[30:31], s[72:73]
	s_branch .LBB17_2
.LBB17_8:
	s_clause 0x2
	scratch_load_b32 v127, off, s33
	scratch_load_b32 v41, off, s33 offset:4
	scratch_load_b32 v40, off, s33 offset:8
	v_readlane_b32 s30, v42, 0
	v_readlane_b32 s31, v42, 1
	s_mov_b32 s32, s33
	s_wait_xcnt 0x0
	s_or_saveexec_b32 s0, -1
	scratch_load_b32 v42, off, s33 offset:12 ; 4-byte Folded Reload
	s_wait_xcnt 0x0
	s_mov_b32 exec_lo, s0
	s_mov_b32 s33, s75
	s_wait_loadcnt 0x0
	s_set_pc_i64 s[30:31]
.Lfunc_end17:
	.size	_Z46ncclDevFunc_AllGather_RING_SIMPLE_Sum_i8_0_0_4v, .Lfunc_end17-_Z46ncclDevFunc_AllGather_RING_SIMPLE_Sum_i8_0_0_4v
                                        ; -- End function
	.set .L_Z46ncclDevFunc_AllGather_RING_SIMPLE_Sum_i8_0_0_4v.num_vgpr, max(128, .L_ZN12_GLOBAL__N_17runRingIa7FuncSumIaE11ProtoSimpleILi2ELi2ELi0ELi4ELi0ELi0EELi0ELi4ELi0ELb0EEEviiP15ncclDevWorkColl.num_vgpr)
	.set .L_Z46ncclDevFunc_AllGather_RING_SIMPLE_Sum_i8_0_0_4v.num_agpr, max(0, .L_ZN12_GLOBAL__N_17runRingIa7FuncSumIaE11ProtoSimpleILi2ELi2ELi0ELi4ELi0ELi0EELi0ELi4ELi0ELb0EEEviiP15ncclDevWorkColl.num_agpr)
	.set .L_Z46ncclDevFunc_AllGather_RING_SIMPLE_Sum_i8_0_0_4v.numbered_sgpr, max(76, .L_ZN12_GLOBAL__N_17runRingIa7FuncSumIaE11ProtoSimpleILi2ELi2ELi0ELi4ELi0ELi0EELi0ELi4ELi0ELb0EEEviiP15ncclDevWorkColl.numbered_sgpr)
	.set .L_Z46ncclDevFunc_AllGather_RING_SIMPLE_Sum_i8_0_0_4v.num_named_barrier, max(0, .L_ZN12_GLOBAL__N_17runRingIa7FuncSumIaE11ProtoSimpleILi2ELi2ELi0ELi4ELi0ELi0EELi0ELi4ELi0ELb0EEEviiP15ncclDevWorkColl.num_named_barrier)
	.set .L_Z46ncclDevFunc_AllGather_RING_SIMPLE_Sum_i8_0_0_4v.private_seg_size, 32+max(.L_ZN12_GLOBAL__N_17runRingIa7FuncSumIaE11ProtoSimpleILi2ELi2ELi0ELi4ELi0ELi0EELi0ELi4ELi0ELb0EEEviiP15ncclDevWorkColl.private_seg_size)
	.set .L_Z46ncclDevFunc_AllGather_RING_SIMPLE_Sum_i8_0_0_4v.uses_vcc, or(1, .L_ZN12_GLOBAL__N_17runRingIa7FuncSumIaE11ProtoSimpleILi2ELi2ELi0ELi4ELi0ELi0EELi0ELi4ELi0ELb0EEEviiP15ncclDevWorkColl.uses_vcc)
	.set .L_Z46ncclDevFunc_AllGather_RING_SIMPLE_Sum_i8_0_0_4v.uses_flat_scratch, or(1, .L_ZN12_GLOBAL__N_17runRingIa7FuncSumIaE11ProtoSimpleILi2ELi2ELi0ELi4ELi0ELi0EELi0ELi4ELi0ELb0EEEviiP15ncclDevWorkColl.uses_flat_scratch)
	.set .L_Z46ncclDevFunc_AllGather_RING_SIMPLE_Sum_i8_0_0_4v.has_dyn_sized_stack, or(0, .L_ZN12_GLOBAL__N_17runRingIa7FuncSumIaE11ProtoSimpleILi2ELi2ELi0ELi4ELi0ELi0EELi0ELi4ELi0ELb0EEEviiP15ncclDevWorkColl.has_dyn_sized_stack)
	.set .L_Z46ncclDevFunc_AllGather_RING_SIMPLE_Sum_i8_0_0_4v.has_recursion, or(1, .L_ZN12_GLOBAL__N_17runRingIa7FuncSumIaE11ProtoSimpleILi2ELi2ELi0ELi4ELi0ELi0EELi0ELi4ELi0ELb0EEEviiP15ncclDevWorkColl.has_recursion)
	.set .L_Z46ncclDevFunc_AllGather_RING_SIMPLE_Sum_i8_0_0_4v.has_indirect_call, or(0, .L_ZN12_GLOBAL__N_17runRingIa7FuncSumIaE11ProtoSimpleILi2ELi2ELi0ELi4ELi0ELi0EELi0ELi4ELi0ELb0EEEviiP15ncclDevWorkColl.has_indirect_call)
	.section	.AMDGPU.csdata,"",@progbits
; Function info:
; codeLenInByte = 464
; TotalNumSgprs: 78
; NumVgprs: 128
; ScratchSize: 304
; MemoryBound: 0
	.text
	.p2align	2                               ; -- Begin function _Z41ncclDevFunc_AllGather_PAT_LL_Sum_i8_0_0_4v
	.type	_Z41ncclDevFunc_AllGather_PAT_LL_Sum_i8_0_0_4v,@function
_Z41ncclDevFunc_AllGather_PAT_LL_Sum_i8_0_0_4v: ; @_Z41ncclDevFunc_AllGather_PAT_LL_Sum_i8_0_0_4v
; %bb.0:
	s_wait_loadcnt_dscnt 0x0
	s_wait_kmcnt 0x0
	s_trap 2
	ds_load_b32 v0, v0
	s_wait_dscnt 0x0
	v_cmp_gt_i32_e32 vcc_lo, 1, v0
	s_cbranch_vccnz .LBB18_6
; %bb.1:
	s_mov_b32 s0, 0
	s_branch .LBB18_3
.LBB18_2:                               ;   in Loop: Header=BB18_3 Depth=1
	s_add_co_i32 s0, s0, 1
	s_wait_dscnt 0x0
	v_cmp_lt_i32_e32 vcc_lo, s0, v0
	s_cbranch_vccz .LBB18_6
.LBB18_3:                               ; =>This Inner Loop Header: Depth=1
	s_cmp_eq_u32 s0, 0
	s_cbranch_scc1 .LBB18_2
; %bb.4:                                ;   in Loop: Header=BB18_3 Depth=1
	s_trap 2
	ds_load_b32 v1, v0
	s_wait_dscnt 0x0
	v_xor_b32_e32 v1, v1, v1
	s_delay_alu instid0(VALU_DEP_1) | instskip(NEXT) | instid1(VALU_DEP_1)
	v_and_b32_e32 v1, 0xff0000, v1
	v_cmp_eq_u32_e32 vcc_lo, 0, v1
	s_cbranch_vccnz .LBB18_2
; %bb.5:                                ;   in Loop: Header=BB18_3 Depth=1
	s_wait_storecnt 0x0
	s_barrier_signal -1
	s_barrier_wait -1
	s_trap 2
	ds_load_b32 v0, v0
	s_branch .LBB18_2
.LBB18_6:
	s_set_pc_i64 s[30:31]
.Lfunc_end18:
	.size	_Z41ncclDevFunc_AllGather_PAT_LL_Sum_i8_0_0_4v, .Lfunc_end18-_Z41ncclDevFunc_AllGather_PAT_LL_Sum_i8_0_0_4v
                                        ; -- End function
	.set .L_Z41ncclDevFunc_AllGather_PAT_LL_Sum_i8_0_0_4v.num_vgpr, 2
	.set .L_Z41ncclDevFunc_AllGather_PAT_LL_Sum_i8_0_0_4v.num_agpr, 0
	.set .L_Z41ncclDevFunc_AllGather_PAT_LL_Sum_i8_0_0_4v.numbered_sgpr, 32
	.set .L_Z41ncclDevFunc_AllGather_PAT_LL_Sum_i8_0_0_4v.num_named_barrier, 0
	.set .L_Z41ncclDevFunc_AllGather_PAT_LL_Sum_i8_0_0_4v.private_seg_size, 0
	.set .L_Z41ncclDevFunc_AllGather_PAT_LL_Sum_i8_0_0_4v.uses_vcc, 1
	.set .L_Z41ncclDevFunc_AllGather_PAT_LL_Sum_i8_0_0_4v.uses_flat_scratch, 0
	.set .L_Z41ncclDevFunc_AllGather_PAT_LL_Sum_i8_0_0_4v.has_dyn_sized_stack, 0
	.set .L_Z41ncclDevFunc_AllGather_PAT_LL_Sum_i8_0_0_4v.has_recursion, 0
	.set .L_Z41ncclDevFunc_AllGather_PAT_LL_Sum_i8_0_0_4v.has_indirect_call, 0
	.section	.AMDGPU.csdata,"",@progbits
; Function info:
; codeLenInByte = 136
; TotalNumSgprs: 34
; NumVgprs: 2
; ScratchSize: 0
; MemoryBound: 0
	.text
	.p2align	2                               ; -- Begin function _Z45ncclDevFunc_AllGather_PAT_SIMPLE_Sum_i8_0_0_4v
	.type	_Z45ncclDevFunc_AllGather_PAT_SIMPLE_Sum_i8_0_0_4v,@function
_Z45ncclDevFunc_AllGather_PAT_SIMPLE_Sum_i8_0_0_4v: ; @_Z45ncclDevFunc_AllGather_PAT_SIMPLE_Sum_i8_0_0_4v
; %bb.0:
	s_wait_loadcnt_dscnt 0x0
	s_wait_kmcnt 0x0
	s_clause 0xd
	scratch_store_b32 off, v40, s32 offset:52
	; meta instruction
	scratch_store_b32 off, v41, s32 offset:48
	; meta instruction
	;; [unrolled: 2-line block ×13, first 2 shown]
	scratch_store_b32 off, v61, s32
	s_trap 2
	ds_load_b32 v0, v0
	s_wait_dscnt 0x0
	v_cmp_gt_i32_e32 vcc_lo, 1, v0
	s_cbranch_vccnz .LBB19_394
; %bb.1:
	s_load_b32 s0, s[8:9], 0x0
	s_bfe_u32 s1, ttmp6, 0x4000c
	s_and_b32 s2, ttmp6, 15
	s_add_co_i32 s1, s1, 1
	s_getreg_b32 s3, hwreg(HW_REG_IB_STS2, 6, 4)
	s_mul_i32 s1, ttmp9, s1
	s_mov_b32 s13, 0
	s_add_co_i32 s2, s2, s1
	s_cmp_eq_u32 s3, 0
	v_and_b32_e32 v102, 0x3ff, v31
	s_cselect_b32 s1, ttmp9, s2
	v_dual_mov_b32 v34, 0 :: v_dual_bitop2_b32 v0, 31, v31 bitop3:0x40
	v_mov_b64_e32 v[36:37], 0
	v_mov_b64_e32 v[38:39], 0x100000001
	;; [unrolled: 1-line block ×3, first 2 shown]
	v_cmp_gt_u32_e64 s4, 0x80, v102
	v_cmp_eq_u32_e64 s5, 0, v0
	v_cvt_f32_i32_e32 v103, v102
	v_dual_mov_b32 v112, 1 :: v_dual_mov_b32 v113, -1
	s_wait_kmcnt 0x0
	s_cmp_lt_u32 s1, s0
	v_cmp_gt_u32_e64 s0, 32, v102
	s_cselect_b32 s12, 12, 18
	v_cmp_eq_u32_e64 s1, 0, v102
	s_add_nc_u64 s[2:3], s[8:9], s[12:13]
	v_mov_b32_e32 v114, 0x7ffffff0
	s_load_u16 s16, s[2:3], 0x0
	s_wait_xcnt 0x0
	v_cmp_eq_u32_e64 s2, 0x80, v102
	v_cmp_ne_u32_e64 s3, 0x80, v102
	v_mov_b32_e32 v115, 0x318
	s_add_co_i32 s17, s32, 0x110
	s_addk_co_i32 s18, 0x700
	s_get_pc_i64 s[14:15]
	s_add_nc_u64 s[14:15], s[14:15], __const.Primitives.roles.10@rel64+4
	s_trap 2
	s_branch .LBB19_4
.LBB19_2:                               ;   in Loop: Header=BB19_4 Depth=1
	s_or_b32 exec_lo, exec_lo, s10
.LBB19_3:                               ;   in Loop: Header=BB19_4 Depth=1
	s_delay_alu instid0(SALU_CYCLE_1)
	s_or_b32 exec_lo, exec_lo, s19
	s_trap 2
	ds_load_b32 v0, v0
	s_add_co_i32 s13, s13, 1
	s_wait_dscnt 0x0
	v_cmp_lt_i32_e32 vcc_lo, s13, v0
	s_cbranch_vccz .LBB19_394
.LBB19_4:                               ; =>This Loop Header: Depth=1
                                        ;     Child Loop BB19_18 Depth 2
                                        ;     Child Loop BB19_26 Depth 2
                                        ;     Child Loop BB19_40 Depth 2
                                        ;     Child Loop BB19_53 Depth 2
                                        ;       Child Loop BB19_54 Depth 3
                                        ;       Child Loop BB19_86 Depth 3
	;; [unrolled: 1-line block ×12, first 2 shown]
                                        ;     Child Loop BB19_236 Depth 2
                                        ;     Child Loop BB19_248 Depth 2
	;; [unrolled: 1-line block ×7, first 2 shown]
                                        ;       Child Loop BB19_295 Depth 3
                                        ;       Child Loop BB19_354 Depth 3
	;; [unrolled: 1-line block ×5, first 2 shown]
	s_trap 2
	ds_load_b32 v0, v0
	s_cmp_eq_u32 s13, 0
	s_wait_dscnt 0x0
	v_readfirstlane_b32 s7, v0
	s_cbranch_scc1 .LBB19_7
; %bb.5:                                ;   in Loop: Header=BB19_4 Depth=1
	s_trap 2
	ds_load_b32 v0, v0
	s_wait_dscnt 0x0
	v_xor_b32_e32 v0, s7, v0
	s_delay_alu instid0(VALU_DEP_1) | instskip(NEXT) | instid1(VALU_DEP_1)
	v_and_b32_e32 v0, 0xff0000, v0
	v_cmp_eq_u32_e32 vcc_lo, 0, v0
	s_cbranch_vccnz .LBB19_7
; %bb.6:                                ;   in Loop: Header=BB19_4 Depth=1
	s_wait_storecnt 0x0
	s_barrier_signal -1
	s_barrier_wait -1
	s_trap 2
	ds_load_b32 v0, v0
	s_wait_dscnt 0x0
	v_readfirstlane_b32 s7, v0
.LBB19_7:                               ;   in Loop: Header=BB19_4 Depth=1
	s_delay_alu instid0(VALU_DEP_1) | instskip(SKIP_2) | instid1(SALU_CYCLE_1)
	s_lshr_b32 s6, s7, 11
	s_mov_b32 s19, exec_lo
	s_and_b32 s6, s6, 0x1fe0
	v_cmpx_gt_u32_e64 s6, v102
	s_cbranch_execz .LBB19_3
; %bb.8:                                ;   in Loop: Header=BB19_4 Depth=1
	s_trap 2
	ds_load_2addr_b64 v[0:3], v0 offset1:1
	s_and_b32 s12, s7, 0xff
	s_bfe_u32 s9, s7, 0x80008
	s_not_b32 s8, s12
	s_wait_dscnt 0x0
	ds_load_b32 v4, v0
	ds_load_b64 v[6:7], v0
	s_add_co_i32 s10, s9, s8
	s_delay_alu instid0(SALU_CYCLE_1) | instskip(NEXT) | instid1(SALU_CYCLE_1)
	s_ashr_i32 s11, s10, 31
	v_mul_u64_e32 v[8:9], s[10:11], v[2:3]
	s_wait_dscnt 0x1
	v_cmp_ne_u32_e32 vcc_lo, s12, v4
	s_wait_dscnt 0x0
	v_readfirstlane_b32 s21, v6
	v_readfirstlane_b32 s20, v7
	s_delay_alu instid0(VALU_DEP_4)
	v_add_nc_u64_e32 v[8:9], v[8:9], v[0:1]
	s_cbranch_vccz .LBB19_11
; %bb.9:                                ;   in Loop: Header=BB19_4 Depth=1
	v_cmp_ne_u32_e32 vcc_lo, s9, v4
	s_cbranch_vccz .LBB19_12
; %bb.10:                               ;   in Loop: Header=BB19_4 Depth=1
	v_add_nc_u32_e32 v4, s8, v4
	s_trap 2
	ds_load_b64 v[10:11], v0
	v_ashrrev_i32_e32 v5, 31, v4
	s_delay_alu instid0(VALU_DEP_1) | instskip(SKIP_2) | instid1(VALU_DEP_2)
	v_mul_u64_e32 v[4:5], v[2:3], v[4:5]
	s_wait_dscnt 0x0
	v_lshrrev_b64 v[10:11], 12, v[10:11]
	v_add_nc_u64_e32 v[4:5], v[4:5], v[0:1]
	s_cbranch_execz .LBB19_13
	s_branch .LBB19_14
.LBB19_11:                              ;   in Loop: Header=BB19_4 Depth=1
                                        ; implicit-def: $vgpr10_vgpr11
                                        ; implicit-def: $vgpr4_vgpr5
	s_branch .LBB19_15
.LBB19_12:                              ;   in Loop: Header=BB19_4 Depth=1
                                        ; implicit-def: $vgpr10_vgpr11
                                        ; implicit-def: $vgpr4_vgpr5
.LBB19_13:                              ;   in Loop: Header=BB19_4 Depth=1
	s_trap 2
	ds_load_b32 v2, v0
	v_mov_b64_e32 v[4:5], v[8:9]
	s_wait_dscnt 0x0
	v_lshrrev_b32_e32 v10, 1, v2
	v_mov_b64_e32 v[2:3], v[6:7]
.LBB19_14:                              ;   in Loop: Header=BB19_4 Depth=1
	s_cbranch_execnz .LBB19_16
.LBB19_15:                              ;   in Loop: Header=BB19_4 Depth=1
	s_trap 2
	ds_load_b64 v[2:3], v0
	v_mov_b64_e32 v[4:5], 0
	s_wait_dscnt 0x0
	v_lshlrev_b64_e32 v[10:11], 9, v[2:3]
	v_mov_b64_e32 v[2:3], v[0:1]
.LBB19_16:                              ;   in Loop: Header=BB19_4 Depth=1
	s_wait_storecnt 0x0
	s_barrier_signal -1
	s_barrier_wait -1
	s_and_saveexec_b32 s8, s0
	s_cbranch_execz .LBB19_19
; %bb.17:                               ;   in Loop: Header=BB19_4 Depth=1
	v_mov_b32_e32 v0, v102
	s_bfe_u32 s7, s7, 0x80010
	s_mov_b32 s9, 0
	s_mulk_i32 s7, 0x700
                                        ; implicit-def: $vgpr1
.LBB19_18:                              ;   Parent Loop BB19_4 Depth=1
                                        ; =>  This Inner Loop Header: Depth=2
	s_delay_alu instid0(VALU_DEP_1) | instskip(SKIP_4) | instid1(SALU_CYCLE_1)
	v_add_nc_u32_e32 v0, s6, v0
	ds_store_b32 v1, v34
	v_add_nc_u32_e32 v1, s7, v1
	v_cmp_lt_u32_e32 vcc_lo, 31, v0
	s_or_b32 s9, vcc_lo, s9
	s_and_not1_b32 exec_lo, exec_lo, s9
	s_cbranch_execnz .LBB19_18
.LBB19_19:                              ;   in Loop: Header=BB19_4 Depth=1
	s_or_b32 exec_lo, exec_lo, s8
	s_and_saveexec_b32 s6, s1
	s_cbranch_execz .LBB19_21
; %bb.20:                               ;   in Loop: Header=BB19_4 Depth=1
	ds_store_b64 v0, v[36:37]
	s_trap 2
.LBB19_21:                              ;   in Loop: Header=BB19_4 Depth=1
	s_or_b32 exec_lo, exec_lo, s6
	s_and_saveexec_b32 s6, s2
	s_cbranch_execz .LBB19_23
; %bb.22:                               ;   in Loop: Header=BB19_4 Depth=1
	ds_store_b32 v0, v34
	s_trap 2
.LBB19_23:                              ;   in Loop: Header=BB19_4 Depth=1
	s_or_b32 exec_lo, exec_lo, s6
	s_wait_dscnt 0x0
	s_barrier_signal -1
	s_barrier_wait -1
	s_and_saveexec_b32 s6, s3
	s_delay_alu instid0(SALU_CYCLE_1)
	s_xor_b32 s22, exec_lo, s6
	s_cbranch_execz .LBB19_259
; %bb.24:                               ;   in Loop: Header=BB19_4 Depth=1
	s_and_saveexec_b32 s23, s4
	s_cbranch_execz .LBB19_258
; %bb.25:                               ;   in Loop: Header=BB19_4 Depth=1
	s_trap 2
	ds_load_b128 v[0:3], v0
	s_mov_b32 s6, 0
.LBB19_26:                              ;   Parent Loop BB19_4 Depth=1
                                        ; =>  This Inner Loop Header: Depth=2
	s_mov_b64 s[8:9], src_shared_base
	s_cmp_lg_u32 s18, -1
	s_cselect_b32 s8, s18, 0
	s_cselect_b32 s9, s9, 0
	flat_load_b32 v4, v34, s[8:9] scope:SCOPE_SYS
	s_wait_loadcnt 0x0
	s_trap 2
	s_wait_dscnt 0x0
	v_cmp_ne_u32_e32 vcc_lo, 0, v4
	s_or_b32 s6, vcc_lo, s6
	s_wait_xcnt 0x0
	s_and_not1_b32 exec_lo, exec_lo, s6
	s_cbranch_execnz .LBB19_26
; %bb.27:                               ;   in Loop: Header=BB19_4 Depth=1
	s_or_b32 exec_lo, exec_lo, s6
	v_lshlrev_b32_e32 v4, 5, v4
	s_trap 2
	v_mov_b32_e32 v35, 0x800
	s_mov_b32 s6, exec_lo
	s_delay_alu instid0(VALU_DEP_2) | instskip(NEXT) | instid1(VALU_DEP_1)
	v_sub_nc_u32_e32 v5, 0, v4
	v_max_i32_e32 v5, v4, v5
	s_delay_alu instid0(VALU_DEP_1) | instskip(SKIP_1) | instid1(VALU_DEP_2)
	v_cvt_f32_u32_e32 v6, v5
	v_dual_sub_nc_u32 v7, 0, v5 :: v_dual_ashrrev_i32 v4, 31, v4
	v_rcp_iflag_f32_e32 v6, v6
	v_nop
	s_delay_alu instid0(TRANS32_DEP_1) | instskip(NEXT) | instid1(VALU_DEP_1)
	v_mul_f32_e32 v6, 0x4f7ffffe, v6
	v_cvt_u32_f32_e32 v6, v6
	s_delay_alu instid0(VALU_DEP_1) | instskip(NEXT) | instid1(VALU_DEP_1)
	v_mul_lo_u32 v7, v7, v6
	v_mul_hi_u32 v7, v6, v7
	s_delay_alu instid0(VALU_DEP_1) | instskip(NEXT) | instid1(VALU_DEP_1)
	v_add_nc_u32_e32 v6, v6, v7
	v_lshrrev_b32_e32 v6, 25, v6
	s_delay_alu instid0(VALU_DEP_1) | instskip(NEXT) | instid1(VALU_DEP_1)
	v_mul_lo_u32 v7, v6, v5
	v_sub_nc_u32_e32 v7, 0x80, v7
	s_delay_alu instid0(VALU_DEP_1) | instskip(SKIP_2) | instid1(VALU_DEP_1)
	v_sub_nc_u32_e32 v9, v7, v5
	v_cmp_ge_u32_e32 vcc_lo, v7, v5
	v_add_nc_u32_e32 v8, 1, v6
	v_dual_cndmask_b32 v6, v6, v8 :: v_dual_cndmask_b32 v7, v7, v9
	s_delay_alu instid0(VALU_DEP_1) | instskip(NEXT) | instid1(VALU_DEP_2)
	v_add_nc_u32_e32 v8, 1, v6
	v_cmp_ge_u32_e32 vcc_lo, v7, v5
	s_delay_alu instid0(VALU_DEP_2) | instskip(NEXT) | instid1(VALU_DEP_1)
	v_cndmask_b32_e32 v5, v6, v8, vcc_lo
	v_xor_b32_e32 v5, v5, v4
	s_delay_alu instid0(VALU_DEP_1) | instskip(NEXT) | instid1(VALU_DEP_1)
	v_sub_nc_u32_e32 v50, v5, v4
	v_bfe_i32 v5, v50, 25, 2
	s_delay_alu instid0(VALU_DEP_1) | instskip(NEXT) | instid1(VALU_DEP_1)
	v_dual_lshlrev_b32 v52, 5, v50 :: v_dual_bitop2_b32 v5, 1, v5 bitop3:0x54
	v_cvt_f32_i32_e32 v7, v52
	s_delay_alu instid0(VALU_DEP_1) | instskip(SKIP_1) | instid1(TRANS32_DEP_1)
	v_rcp_iflag_f32_e32 v8, v7
	v_nop
	v_mul_f32_e32 v4, v103, v8
	s_delay_alu instid0(VALU_DEP_1) | instskip(NEXT) | instid1(VALU_DEP_1)
	v_trunc_f32_e32 v4, v4
	v_fma_f32 v6, -v4, v7, v103
	v_cvt_i32_f32_e32 v4, v4
	s_delay_alu instid0(VALU_DEP_2) | instskip(SKIP_1) | instid1(VALU_DEP_1)
	v_cmp_ge_f32_e64 vcc_lo, |v6|, |v7|
	v_cndmask_b32_e32 v5, 0, v5, vcc_lo
	v_add_nc_u32_e32 v4, v4, v5
	s_delay_alu instid0(VALU_DEP_1) | instskip(SKIP_2) | instid1(VALU_DEP_1)
	v_bfe_i32 v51, v4, 0, 16
	ds_load_b64 v[4:5], v0
	v_mul_lo_u32 v6, v52, v51
	v_sub_nc_u32_e32 v116, v102, v6
	s_delay_alu instid0(VALU_DEP_1)
	v_cmpx_gt_i32_e32 5, v116
	s_cbranch_execz .LBB19_29
; %bb.28:                               ;   in Loop: Header=BB19_4 Depth=1
	global_load_b32 v9, v116, s[14:15] scale_offset
	s_wait_loadcnt 0x0
	v_or_b32_e32 v35, 0x800, v9
.LBB19_29:                              ;   in Loop: Header=BB19_4 Depth=1
	s_wait_xcnt 0x0
	s_or_b32 exec_lo, exec_lo, s6
	ds_load_b32 v10, v0
	v_lshlrev_b64_e64 v[12:13], v116, 1
	v_cmp_gt_i32_e64 s6, 32, v116
	s_trap 2
	s_wait_dscnt 0x0
	v_ashrrev_i32_e32 v11, 31, v10
	v_readfirstlane_b32 s7, v10
	s_delay_alu instid0(VALU_DEP_2) | instskip(SKIP_1) | instid1(SALU_CYCLE_1)
	v_cmp_lt_u64_e32 vcc_lo, v[12:13], v[10:11]
	s_and_b32 s8, s6, vcc_lo
	s_and_saveexec_b32 s6, s8
	s_cbranch_execz .LBB19_31
; %bb.30:                               ;   in Loop: Header=BB19_4 Depth=1
	s_cvt_f32_u32 s8, s7
	ds_load_b32 v18, v0
	s_sub_co_i32 s9, 0, s7
	s_trap 2
	v_rcp_iflag_f32_e32 v9, s8
	v_nop
	s_delay_alu instid0(TRANS32_DEP_1) | instskip(SKIP_2) | instid1(SALU_CYCLE_3)
	v_readfirstlane_b32 s8, v9
	v_lshlrev_b32_e64 v9, v116, 1
	s_mul_f32 s8, s8, 0x4f7ffffe
	s_cvt_u32_f32 s8, s8
	s_wait_dscnt 0x0
	s_delay_alu instid0(VALU_DEP_1) | instskip(NEXT) | instid1(SALU_CYCLE_1)
	v_dual_add_nc_u32 v12, v18, v9 :: v_dual_sub_nc_u32 v9, s7, v9
	s_mul_i32 s9, s9, s8
	s_delay_alu instid0(SALU_CYCLE_1) | instskip(NEXT) | instid1(VALU_DEP_1)
	s_mul_hi_u32 s9, s8, s9
	v_add_nc_u32_e32 v9, v9, v18
	s_add_co_i32 s10, s8, s9
	s_delay_alu instid0(SALU_CYCLE_1) | instskip(NEXT) | instid1(VALU_DEP_1)
	v_mul_hi_u32 v10, v12, s10
	v_mul_lo_u32 v13, v10, s7
	ds_load_b64 v[10:11], v0
	v_sub_nc_u32_e32 v12, v12, v13
	s_delay_alu instid0(VALU_DEP_1) | instskip(SKIP_3) | instid1(VALU_DEP_3)
	v_subrev_nc_u32_e32 v13, s7, v12
	v_cmp_le_u32_e32 vcc_lo, s7, v12
	s_wait_dscnt 0x0
	v_readfirstlane_b32 s8, v10
	v_cndmask_b32_e32 v12, v12, v13, vcc_lo
	v_readfirstlane_b32 s9, v11
	s_delay_alu instid0(VALU_DEP_2) | instskip(SKIP_1) | instid1(VALU_DEP_2)
	v_subrev_nc_u32_e32 v13, s7, v12
	v_cmp_le_u32_e32 vcc_lo, s7, v12
	v_cndmask_b32_e32 v10, v12, v13, vcc_lo
	flat_load_b64 v[14:15], v10, s[8:9] scale_offset
	s_wait_loadcnt_dscnt 0x0
	flat_load_b64 v[10:11], v[14:15] offset:608
	v_add_nc_u64_e32 v[12:13], 0x1f8, v[14:15]
	s_wait_loadcnt_dscnt 0x0
	ds_store_2addr_b64 v0, v[10:11], v[12:13] offset1:1
	s_clause 0x1
	flat_load_b64 v[16:17], v[14:15] offset:520
	flat_load_b128 v[10:13], v[14:15] offset:552
	s_wait_loadcnt_dscnt 0x101
	ds_store_b64 v0, v[16:17]
	s_wait_loadcnt_dscnt 0x1
	ds_store_b64 v0, v[10:11]
	flat_load_b64 v[10:11], v[10:11] scope:SCOPE_SYS
	v_mul_hi_u32 v16, v9, s10
	v_mov_b32_e32 v17, v34
	s_delay_alu instid0(VALU_DEP_2) | instskip(NEXT) | instid1(VALU_DEP_1)
	v_mul_lo_u32 v16, v16, s7
	v_sub_nc_u32_e32 v9, v9, v16
	s_delay_alu instid0(VALU_DEP_1) | instskip(SKIP_1) | instid1(VALU_DEP_2)
	v_subrev_nc_u32_e32 v16, s7, v9
	v_cmp_le_u32_e32 vcc_lo, s7, v9
	v_dual_cndmask_b32 v9, v9, v16 :: v_dual_mov_b32 v16, v34
	s_delay_alu instid0(VALU_DEP_1) | instskip(SKIP_1) | instid1(VALU_DEP_2)
	v_subrev_nc_u32_e32 v18, s7, v9
	v_cmp_le_u32_e32 vcc_lo, s7, v9
	v_cndmask_b32_e32 v9, v9, v18, vcc_lo
	s_wait_loadcnt_dscnt 0x0
	ds_store_2addr_b64 v0, v[10:11], v[16:17] offset1:1
	flat_load_b64 v[16:17], v9, s[8:9] scale_offset
	s_wait_loadcnt_dscnt 0x0
	flat_load_b64 v[10:11], v[16:17] offset:104
	flat_load_b32 v9, v[14:15] offset:576
	s_wait_loadcnt_dscnt 0x101
	ds_store_2addr_b64 v0, v[10:11], v[16:17] offset1:1
	s_clause 0x1
	flat_load_b64 v[10:11], v[16:17] offset:96
	flat_load_b64 v[14:15], v[16:17] offset:16
	ds_store_b64 v0, v[12:13]
	s_wait_loadcnt_dscnt 0x1
	ds_store_2addr_b64 v0, v[10:11], v[14:15] offset1:1
	flat_load_b128 v[10:13], v[16:17] offset:48
	ds_store_b32 v0, v9
	s_wait_loadcnt_dscnt 0x1
	ds_store_b64 v0, v[12:13]
	flat_load_b64 v[12:13], v[12:13] scope:SCOPE_SYS
	s_wait_loadcnt_dscnt 0x0
	ds_store_2addr_b64 v0, v[10:11], v[12:13] offset1:1
	flat_load_b32 v9, v[16:17] offset:72
	ds_store_b64 v0, v[36:37]
	s_wait_loadcnt_dscnt 0x1
	ds_store_b32 v0, v9
.LBB19_31:                              ;   in Loop: Header=BB19_4 Depth=1
	s_or_b32 exec_lo, exec_lo, s6
	s_delay_alu instid0(SALU_CYCLE_1)
	s_mov_b32 s6, exec_lo
	s_trap 2
	v_cmpx_eq_u32_e32 0, v116
	s_cbranch_execz .LBB19_33
; %bb.32:                               ;   in Loop: Header=BB19_4 Depth=1
	ds_store_2addr_b64 v0, v[2:3], v[0:1] offset0:87 offset1:88
	ds_store_b64 v0, v[4:5]
	s_trap 2
.LBB19_33:                              ;   in Loop: Header=BB19_4 Depth=1
	s_or_b32 exec_lo, exec_lo, s6
	s_wait_kmcnt 0x0
	v_cmp_ne_u32_e64 s6, s16, v52
                                        ; implicit-def: $sgpr24
                                        ; implicit-def: $vgpr54_vgpr55
	s_and_saveexec_b32 s7, s6
	s_delay_alu instid0(SALU_CYCLE_1)
	s_xor_b32 s7, exec_lo, s7
	s_cbranch_execz .LBB19_49
; %bb.34:                               ;   in Loop: Header=BB19_4 Depth=1
	v_mov_b64_e32 v[54:55], 0
	s_mov_b32 s24, 0
	s_and_saveexec_b32 s8, s5
	s_cbranch_execz .LBB19_48
; %bb.35:                               ;   in Loop: Header=BB19_4 Depth=1
	s_mov_b32 s10, exec_lo
	s_mov_b32 s9, exec_lo
	v_mbcnt_lo_u32_b32 v0, s10, 0
	global_wb scope:SCOPE_DEV
	s_wait_storecnt_dscnt 0x0
	global_inv scope:SCOPE_DEV
	v_cmpx_eq_u32_e32 0, v0
	s_cbranch_execz .LBB19_37
; %bb.36:                               ;   in Loop: Header=BB19_4 Depth=1
	s_bcnt1_i32_b32 s10, s10
	s_delay_alu instid0(SALU_CYCLE_1)
	v_dual_mov_b32 v1, v34 :: v_dual_mov_b32 v0, s10
	s_wait_loadcnt 0x0
	ds_add_u64 v0, v[0:1]
	s_trap 2
.LBB19_37:                              ;   in Loop: Header=BB19_4 Depth=1
	s_or_b32 exec_lo, exec_lo, s9
	s_trap 2
	ds_load_b64 v[0:1], v0
	s_wait_dscnt 0x0
	v_cmp_lt_u64_e32 vcc_lo, 3, v[0:1]
	s_cbranch_vccnz .LBB19_47
; %bb.38:                               ;   in Loop: Header=BB19_4 Depth=1
	s_mov_b32 s9, 0
	s_mov_b32 s12, 0
                                        ; implicit-def: $sgpr10
                                        ; implicit-def: $sgpr11
	s_branch .LBB19_40
.LBB19_39:                              ;   in Loop: Header=BB19_40 Depth=2
	s_or_b32 exec_lo, exec_lo, s25
	s_delay_alu instid0(SALU_CYCLE_1) | instskip(NEXT) | instid1(SALU_CYCLE_1)
	s_and_b32 s24, exec_lo, s26
	s_or_b32 s9, s24, s9
	s_and_not1_b32 s10, s10, exec_lo
	s_and_b32 s24, s11, exec_lo
	s_delay_alu instid0(SALU_CYCLE_1)
	s_or_b32 s10, s10, s24
	s_and_not1_b32 exec_lo, exec_lo, s9
	s_cbranch_execz .LBB19_44
.LBB19_40:                              ;   Parent Loop BB19_4 Depth=1
                                        ; =>  This Inner Loop Header: Depth=2
	s_add_co_i32 s12, s12, 1
	s_delay_alu instid0(SALU_CYCLE_1) | instskip(SKIP_1) | instid1(SALU_CYCLE_1)
	s_cmp_lg_u32 s12, 0x2710
	s_cselect_b32 s24, -1, 0
	s_and_b32 vcc_lo, exec_lo, s24
	s_cbranch_vccz .LBB19_42
; %bb.41:                               ;   in Loop: Header=BB19_40 Depth=2
	s_mov_b32 s26, -1
	s_or_b32 s11, s11, exec_lo
	s_and_saveexec_b32 s25, s24
	s_cbranch_execz .LBB19_39
	s_branch .LBB19_43
.LBB19_42:                              ;   in Loop: Header=BB19_40 Depth=2
	s_trap 2
	ds_load_b64 v[0:1], v0
	s_and_not1_b32 s24, s24, exec_lo
	s_mov_b32 s12, 0
	s_wait_loadcnt_dscnt 0x0
	flat_load_b32 v0, v[0:1] scope:SCOPE_SYS
	s_wait_loadcnt_dscnt 0x0
	global_inv scope:SCOPE_SYS
	v_cmp_eq_u32_e32 vcc_lo, 0, v0
	s_and_b32 s25, vcc_lo, exec_lo
	s_delay_alu instid0(SALU_CYCLE_1)
	s_or_b32 s24, s24, s25
	s_mov_b32 s26, -1
	s_or_b32 s11, s11, exec_lo
	s_and_saveexec_b32 s25, s24
	s_cbranch_execz .LBB19_39
.LBB19_43:                              ;   in Loop: Header=BB19_40 Depth=2
	s_sleep 1
	s_trap 2
	ds_load_b64 v[0:1], v0
	s_wait_dscnt 0x0
	s_and_not1_b32 s11, s11, exec_lo
	v_cmp_lt_u64_e32 vcc_lo, 3, v[0:1]
	s_or_not1_b32 s26, vcc_lo, exec_lo
	s_branch .LBB19_39
.LBB19_44:                              ;   in Loop: Header=BB19_4 Depth=1
	s_or_b32 exec_lo, exec_lo, s9
	s_and_saveexec_b32 s9, s10
	s_delay_alu instid0(SALU_CYCLE_1)
	s_xor_b32 s9, exec_lo, s9
	s_cbranch_execz .LBB19_46
; %bb.45:                               ;   in Loop: Header=BB19_4 Depth=1
	ds_store_b32 v0, v112
	s_trap 2
.LBB19_46:                              ;   in Loop: Header=BB19_4 Depth=1
	s_or_b32 exec_lo, exec_lo, s9
.LBB19_47:                              ;   in Loop: Header=BB19_4 Depth=1
	v_mov_b64_e32 v[54:55], 4
	s_mov_b32 s24, exec_lo
	;;#ASMSTART
	s_wakeup
	;;#ASMEND
.LBB19_48:                              ;   in Loop: Header=BB19_4 Depth=1
	s_or_b32 exec_lo, exec_lo, s8
.LBB19_49:                              ;   in Loop: Header=BB19_4 Depth=1
	s_and_not1_saveexec_b32 s7, s7
	s_cbranch_execz .LBB19_51
; %bb.50:                               ;   in Loop: Header=BB19_4 Depth=1
	v_mov_b64_e32 v[54:55], 0
	s_and_not1_b32 s8, s24, exec_lo
	s_and_b32 s9, s5, exec_lo
	global_wb scope:SCOPE_DEV
	s_wait_storecnt 0x0
	s_wait_loadcnt_dscnt 0x0
	global_inv scope:SCOPE_DEV
	s_or_b32 s24, s8, s9
	s_barrier_signal -1
	s_barrier_wait -1
.LBB19_51:                              ;   in Loop: Header=BB19_4 Depth=1
	s_or_b32 exec_lo, exec_lo, s7
	v_ashrrev_i32_e32 v2, 30, v52
	v_ashrrev_i32_e32 v1, 31, v116
	v_and_b32_e32 v3, 0x7fffffff, v7
	v_dual_lshlrev_b32 v66, 9, v50 :: v_dual_lshlrev_b32 v68, 10, v50
	s_delay_alu instid0(VALU_DEP_4) | instskip(NEXT) | instid1(VALU_DEP_4)
	v_or_b32_e32 v2, 1, v2
	v_dual_mul_f32 v0, 0x43000000, v8 :: v_dual_lshrrev_b32 v1, 27, v1
	v_ashrrev_i32_e32 v53, 31, v52
	s_delay_alu instid0(VALU_DEP_4) | instskip(SKIP_1) | instid1(VALU_DEP_4)
	v_ashrrev_i32_e32 v69, 31, v68
	v_cmp_eq_u32_e64 s8, v102, v6
	v_trunc_f32_e32 v0, v0
	v_add_nc_u32_e32 v1, v116, v1
	s_mov_b32 s25, 0
                                        ; implicit-def: $vgpr70_vgpr71
	v_lshlrev_b32_e32 v64, 12, v50
	v_ashrrev_i32_e32 v67, 31, v66
	v_fma_f32 v4, -v0, v7, 0x43000000
	v_cvt_i32_f32_e32 v0, v0
	s_delay_alu instid0(VALU_DEP_4) | instskip(NEXT) | instid1(VALU_DEP_3)
	v_dual_ashrrev_i32 v117, 5, v1 :: v_dual_ashrrev_i32 v65, 31, v64
	v_cmp_ge_f32_e64 vcc_lo, |v4|, v3
	v_and_b32_e32 v3, 0xffffffe0, v1
	s_delay_alu instid0(VALU_DEP_3) | instskip(NEXT) | instid1(VALU_DEP_2)
	v_dual_cndmask_b32 v2, 0, v2 :: v_dual_lshlrev_b32 v1, 12, v117
	v_sub_nc_u32_e32 v118, v116, v3
	s_delay_alu instid0(VALU_DEP_2) | instskip(NEXT) | instid1(VALU_DEP_2)
	v_add_nc_u32_e32 v0, v0, v2
	v_cmp_gt_i32_e64 s7, 1, v118
	s_delay_alu instid0(VALU_DEP_2) | instskip(SKIP_3) | instid1(VALU_DEP_1)
	v_add_nc_u32_e32 v119, 0x318, v0
	v_add_nc_u32_e32 v40, 0x310, v0
	v_bfe_i32 v41, v0, 0, 16
	v_lshl_add_u32 v0, v118, 4, v1
	v_ashrrev_i32_e32 v1, 31, v0
	v_lshl_add_u32 v42, v118, 3, v0
	s_delay_alu instid0(VALU_DEP_2)
	v_add_nc_u64_e32 v[80:81], 0xe00, v[0:1]
	s_branch .LBB19_53
.LBB19_52:                              ;   in Loop: Header=BB19_53 Depth=2
	s_or_b32 exec_lo, exec_lo, s9
	s_wait_dscnt 0x0
	v_cmp_ne_u32_e32 vcc_lo, 0, v43
	v_add_nc_u32_e32 v51, v51, v41
	s_or_b32 s25, vcc_lo, s25
	s_delay_alu instid0(SALU_CYCLE_1)
	s_and_not1_b32 exec_lo, exec_lo, s25
	s_cbranch_execz .LBB19_229
.LBB19_53:                              ;   Parent Loop BB19_4 Depth=1
                                        ; =>  This Loop Header: Depth=2
                                        ;       Child Loop BB19_54 Depth 3
                                        ;       Child Loop BB19_86 Depth 3
	;; [unrolled: 1-line block ×12, first 2 shown]
	s_mov_b32 s9, 0
	s_trap 2
.LBB19_54:                              ;   Parent Loop BB19_4 Depth=1
                                        ;     Parent Loop BB19_53 Depth=2
                                        ; =>    This Inner Loop Header: Depth=3
	ds_load_b32 v0, v0 offset:36
	s_wait_dscnt 0x0
	v_cmp_ne_u32_e32 vcc_lo, 0, v0
	s_or_b32 s9, vcc_lo, s9
	s_delay_alu instid0(SALU_CYCLE_1)
	s_and_not1_b32 exec_lo, exec_lo, s9
	s_cbranch_execnz .LBB19_54
; %bb.55:                               ;   in Loop: Header=BB19_53 Depth=2
	s_or_b32 exec_lo, exec_lo, s9
	ds_load_b32 v43, v0 offset:32
	v_and_b32_e32 v0, 2, v0
	s_mov_b32 s9, exec_lo
	s_delay_alu instid0(VALU_DEP_1)
	v_cmpx_ne_u32_e32 0, v0
	s_xor_b32 s9, exec_lo, s9
	s_cbranch_execnz .LBB19_58
; %bb.56:                               ;   in Loop: Header=BB19_53 Depth=2
	s_and_not1_saveexec_b32 s26, s9
	s_cbranch_execnz .LBB19_64
.LBB19_57:                              ;   in Loop: Header=BB19_53 Depth=2
	s_or_b32 exec_lo, exec_lo, s26
	s_and_saveexec_b32 s9, s8
	s_cbranch_execz .LBB19_52
	s_branch .LBB19_203
.LBB19_58:                              ;   in Loop: Header=BB19_53 Depth=2
	s_and_saveexec_b32 s10, s6
	s_delay_alu instid0(SALU_CYCLE_1)
	s_xor_b32 s10, exec_lo, s10
	s_cbranch_execnz .LBB19_80
; %bb.59:                               ;   in Loop: Header=BB19_53 Depth=2
	s_and_not1_saveexec_b32 s10, s10
	s_cbranch_execnz .LBB19_153
.LBB19_60:                              ;   in Loop: Header=BB19_53 Depth=2
	s_or_b32 exec_lo, exec_lo, s10
	s_and_saveexec_b32 s10, s6
	s_delay_alu instid0(SALU_CYCLE_1)
	s_xor_b32 s10, exec_lo, s10
	s_cbranch_execnz .LBB19_154
.LBB19_61:                              ;   in Loop: Header=BB19_53 Depth=2
	s_and_not1_saveexec_b32 s10, s10
	s_cbranch_execz .LBB19_63
.LBB19_62:                              ;   in Loop: Header=BB19_53 Depth=2
	global_wb scope:SCOPE_DEV
	s_wait_storecnt 0x0
	s_wait_loadcnt_dscnt 0x0
	global_inv scope:SCOPE_DEV
	s_barrier_signal -1
	s_barrier_wait -1
.LBB19_63:                              ;   in Loop: Header=BB19_53 Depth=2
	s_or_b32 exec_lo, exec_lo, s10
	s_and_not1_saveexec_b32 s26, s9
	s_cbranch_execz .LBB19_57
.LBB19_64:                              ;   in Loop: Header=BB19_53 Depth=2
	ds_load_b64 v[4:5], v0
	ds_load_2addr_b64 v[0:3], v0 offset0:87 offset1:88
	v_dual_mov_b32 v44, -1 :: v_dual_bitop2_b32 v7, 36, v35 bitop3:0x40
	s_wait_dscnt 0x0
	ds_load_b32 v6, v0 offset:28
	ds_load_2addr_b32 v[84:85], v0 offset0:5 offset1:6
	v_cmp_lt_i32_e32 vcc_lo, -1, v4
	v_cmp_ne_u32_e64 s9, 0, v7
	s_and_b32 s27, vcc_lo, s9
	s_delay_alu instid0(SALU_CYCLE_1)
	s_and_saveexec_b32 s9, s27
	s_cbranch_execz .LBB19_66
; %bb.65:                               ;   in Loop: Header=BB19_53 Depth=2
	s_trap 2
	ds_load_b64 v[70:71], v0
                                        ; implicit-def: $vgpr44
.LBB19_66:                              ;   in Loop: Header=BB19_53 Depth=2
	s_or_b32 exec_lo, exec_lo, s9
	v_and_b32_e32 v4, 24, v35
	v_cmp_lt_i32_e32 vcc_lo, -1, v5
	s_delay_alu instid0(VALU_DEP_2) | instskip(SKIP_1) | instid1(SALU_CYCLE_1)
	v_cmp_ne_u32_e64 s9, 0, v4
	s_and_b32 s28, vcc_lo, s9
	s_and_saveexec_b32 s9, s28
	s_cbranch_execz .LBB19_68
; %bb.67:                               ;   in Loop: Header=BB19_53 Depth=2
	s_trap 2
	s_wait_dscnt 0x0
	ds_load_b64 v[70:71], v0
                                        ; implicit-def: $vgpr44
.LBB19_68:                              ;   in Loop: Header=BB19_53 Depth=2
	s_or_b32 exec_lo, exec_lo, s9
	v_and_b32_e32 v4, 4, v35
	s_wait_dscnt 0x0
	v_add_nc_u64_e32 v[86:87], 1, v[70:71]
	v_max_i32_e32 v82, 0, v6
	s_delay_alu instid0(VALU_DEP_3) | instskip(SKIP_1) | instid1(SALU_CYCLE_1)
	v_cmp_ne_u32_e32 vcc_lo, 0, v4
	s_and_b32 s9, s27, vcc_lo
	s_and_saveexec_b32 s10, s9
	s_cbranch_execz .LBB19_98
; %bb.69:                               ;   in Loop: Header=BB19_53 Depth=2
	ds_load_2addr_b32 v[4:5], v0 offset0:2 offset1:4
	ds_load_2addr_b64 v[10:13], v44 offset0:3 offset1:6
	ds_load_b32 v9, v44 offset:64
	s_mov_b32 s11, exec_lo
	s_wait_dscnt 0x2
	v_dual_add_nc_u32 v6, v70, v5 :: v_dual_mov_b32 v8, v5
	s_delay_alu instid0(VALU_DEP_1) | instskip(SKIP_2) | instid1(VALU_DEP_2)
	v_and_b32_e32 v14, 7, v6
	v_add_nc_u64_e32 v[6:7], 1, v[70:71]
	s_wait_dscnt 0x0
	v_mad_nc_i64_i32 v[10:11], v14, v9, v[10:11]
	v_dual_ashrrev_i32 v9, 31, v5 :: v_dual_ashrrev_i32 v5, 31, v4
	s_delay_alu instid0(VALU_DEP_1) | instskip(NEXT) | instid1(VALU_DEP_2)
	v_add_nc_u64_e32 v[14:15], v[6:7], v[8:9]
	v_add_nc_u64_e32 v[10:11], v[10:11], v[4:5]
	v_mov_b64_e32 v[4:5], v[8:9]
	ds_store_b64 v0, v[10:11] offset:720
	v_cmpx_lt_u64_e64 v[12:13], v[14:15]
	s_cbranch_execz .LBB19_93
; %bb.70:                               ;   in Loop: Header=BB19_53 Depth=2
	v_and_b32_e32 v9, 64, v35
	s_mov_b32 s12, 0
	s_mov_b32 s42, 0
                                        ; implicit-def: $sgpr29
                                        ; implicit-def: $sgpr40
                                        ; implicit-def: $sgpr41
	s_delay_alu instid0(VALU_DEP_1)
	v_cmp_eq_u32_e32 vcc_lo, 0, v9
	s_branch .LBB19_73
.LBB19_71:                              ;   in Loop: Header=BB19_73 Depth=3
	s_or_b32 exec_lo, exec_lo, s47
	s_delay_alu instid0(SALU_CYCLE_1)
	s_and_not1_b32 s9, s41, exec_lo
	s_and_b32 s41, s45, exec_lo
	s_and_not1_b32 s40, s40, exec_lo
	s_and_b32 s44, s44, exec_lo
	s_or_b32 s41, s9, s41
	s_or_b32 s40, s40, s44
.LBB19_72:                              ;   in Loop: Header=BB19_73 Depth=3
	s_or_b32 exec_lo, exec_lo, s43
	s_delay_alu instid0(SALU_CYCLE_1) | instskip(NEXT) | instid1(SALU_CYCLE_1)
	s_and_b32 s9, exec_lo, s40
	s_or_b32 s12, s9, s12
	s_and_not1_b32 s9, s29, exec_lo
	s_and_b32 s29, s41, exec_lo
	s_delay_alu instid0(SALU_CYCLE_1)
	s_or_b32 s29, s9, s29
	s_and_not1_b32 exec_lo, exec_lo, s12
	s_cbranch_execz .LBB19_90
.LBB19_73:                              ;   Parent Loop BB19_4 Depth=1
                                        ;     Parent Loop BB19_53 Depth=2
                                        ; =>    This Inner Loop Header: Depth=3
	ds_load_b64 v[10:11], v44 offset:40
	s_or_b32 s41, s41, exec_lo
	s_or_b32 s40, s40, exec_lo
                                        ; implicit-def: $vgpr14
	s_wait_dscnt 0x0
	flat_load_b64 v[12:13], v[10:11] scope:SCOPE_SYS
	s_wait_xcnt 0x0
	v_mov_b64_e32 v[10:11], v[4:5]
	s_wait_loadcnt_dscnt 0x0
	ds_store_b64 v44, v[12:13] offset:48
	s_and_saveexec_b32 s43, vcc_lo
	s_cbranch_execz .LBB19_72
; %bb.74:                               ;   in Loop: Header=BB19_73 Depth=3
	s_cmp_gt_i32 s42, 0x270e
	s_mov_b32 s44, -1
	s_cbranch_scc0 .LBB19_78
; %bb.75:                               ;   in Loop: Header=BB19_73 Depth=3
	s_trap 2
	ds_load_b64 v[8:9], v0
	s_mov_b32 s45, 0
	s_mov_b32 s46, 0
	s_mov_b32 s42, exec_lo
                                        ; implicit-def: $vgpr12_vgpr13
	s_wait_dscnt 0x0
	flat_load_b32 v14, v[8:9] scope:SCOPE_SYS
	s_wait_loadcnt_dscnt 0x0
	global_inv scope:SCOPE_SYS
                                        ; implicit-def: $vgpr8
	s_wait_xcnt 0x0
	v_cmpx_eq_u32_e32 0, v14
	s_cbranch_execz .LBB19_77
; %bb.76:                               ;   in Loop: Header=BB19_73 Depth=3
	ds_load_b64 v[12:13], v44 offset:48
	ds_load_b32 v8, v0 offset:16
	s_mov_b32 s46, exec_lo
.LBB19_77:                              ;   in Loop: Header=BB19_73 Depth=3
	s_or_b32 exec_lo, exec_lo, s42
	s_mov_b32 s42, 0
                                        ; implicit-def: $vgpr10_vgpr11
	s_and_saveexec_b32 s47, s46
	s_cbranch_execz .LBB19_71
	s_branch .LBB19_79
.LBB19_78:                              ;   in Loop: Header=BB19_73 Depth=3
	s_add_co_i32 s42, s42, 1
	s_mov_b32 s46, -1
	s_mov_b32 s45, -1
                                        ; implicit-def: $vgpr14
                                        ; implicit-def: $vgpr10_vgpr11
	s_and_saveexec_b32 s47, s46
	s_cbranch_execz .LBB19_71
.LBB19_79:                              ;   in Loop: Header=BB19_73 Depth=3
	s_wait_dscnt 0x0
	v_ashrrev_i32_e32 v9, 31, v8
	s_or_b32 s45, s45, exec_lo
	s_delay_alu instid0(VALU_DEP_1) | instskip(NEXT) | instid1(VALU_DEP_1)
	v_add_nc_u64_e32 v[10:11], v[6:7], v[8:9]
	v_cmp_ge_u64_e64 s9, v[12:13], v[10:11]
	v_mov_b64_e32 v[10:11], v[8:9]
	s_or_not1_b32 s44, s9, exec_lo
	s_branch .LBB19_71
.LBB19_80:                              ;   in Loop: Header=BB19_53 Depth=2
	s_and_saveexec_b32 s11, s24
	s_cbranch_execz .LBB19_152
; %bb.81:                               ;   in Loop: Header=BB19_53 Depth=2
	s_mov_b32 s26, exec_lo
	s_mov_b32 s12, exec_lo
	v_mbcnt_lo_u32_b32 v0, s26, 0
	global_wb scope:SCOPE_DEV
	s_wait_storecnt 0x0
	s_wait_loadcnt_dscnt 0x0
	global_inv scope:SCOPE_DEV
	v_cmpx_eq_u32_e32 0, v0
	s_cbranch_execz .LBB19_83
; %bb.82:                               ;   in Loop: Header=BB19_53 Depth=2
	s_bcnt1_i32_b32 s26, s26
	s_delay_alu instid0(SALU_CYCLE_1)
	v_dual_mov_b32 v1, v34 :: v_dual_mov_b32 v0, s26
	s_wait_loadcnt 0x0
	ds_add_u64 v0, v[0:1]
	s_trap 2
.LBB19_83:                              ;   in Loop: Header=BB19_53 Depth=2
	s_or_b32 exec_lo, exec_lo, s12
	s_trap 2
	ds_load_b64 v[0:1], v0
	s_wait_dscnt 0x0
	v_add_nc_u64_e32 v[54:55], 4, v[54:55]
	s_mov_b32 s12, exec_lo
	s_delay_alu instid0(VALU_DEP_1)
	v_cmpx_lt_u64_e64 v[0:1], v[54:55]
	s_cbranch_execz .LBB19_151
; %bb.84:                               ;   in Loop: Header=BB19_53 Depth=2
	s_mov_b32 s26, 0
	s_mov_b32 s29, 0
                                        ; implicit-def: $sgpr27
                                        ; implicit-def: $sgpr28
	s_branch .LBB19_86
.LBB19_85:                              ;   in Loop: Header=BB19_86 Depth=3
	s_or_b32 exec_lo, exec_lo, s41
	s_delay_alu instid0(SALU_CYCLE_1) | instskip(NEXT) | instid1(SALU_CYCLE_1)
	s_and_b32 s40, exec_lo, s42
	s_or_b32 s26, s40, s26
	s_and_not1_b32 s27, s27, exec_lo
	s_and_b32 s40, s28, exec_lo
	s_delay_alu instid0(SALU_CYCLE_1)
	s_or_b32 s27, s27, s40
	s_and_not1_b32 exec_lo, exec_lo, s26
	s_cbranch_execz .LBB19_149
.LBB19_86:                              ;   Parent Loop BB19_4 Depth=1
                                        ;     Parent Loop BB19_53 Depth=2
                                        ; =>    This Inner Loop Header: Depth=3
	s_add_co_i32 s29, s29, 1
	s_delay_alu instid0(SALU_CYCLE_1) | instskip(SKIP_1) | instid1(SALU_CYCLE_1)
	s_cmp_lg_u32 s29, 0x2710
	s_cselect_b32 s40, -1, 0
	s_and_b32 vcc_lo, exec_lo, s40
	s_cbranch_vccz .LBB19_88
; %bb.87:                               ;   in Loop: Header=BB19_86 Depth=3
	s_mov_b32 s42, -1
	s_or_b32 s28, s28, exec_lo
	s_and_saveexec_b32 s41, s40
	s_cbranch_execz .LBB19_85
	s_branch .LBB19_89
.LBB19_88:                              ;   in Loop: Header=BB19_86 Depth=3
	s_trap 2
	ds_load_b64 v[0:1], v0
	s_and_not1_b32 s40, s40, exec_lo
	s_mov_b32 s29, 0
	s_wait_loadcnt_dscnt 0x0
	flat_load_b32 v0, v[0:1] scope:SCOPE_SYS
	s_wait_loadcnt_dscnt 0x0
	global_inv scope:SCOPE_SYS
	v_cmp_eq_u32_e32 vcc_lo, 0, v0
	s_and_b32 s41, vcc_lo, exec_lo
	s_delay_alu instid0(SALU_CYCLE_1)
	s_or_b32 s40, s40, s41
	s_mov_b32 s42, -1
	s_or_b32 s28, s28, exec_lo
	s_and_saveexec_b32 s41, s40
	s_cbranch_execz .LBB19_85
.LBB19_89:                              ;   in Loop: Header=BB19_86 Depth=3
	s_sleep 1
	s_trap 2
	ds_load_b64 v[0:1], v0
	s_wait_dscnt 0x0
	s_and_not1_b32 s28, s28, exec_lo
	v_cmp_ge_u64_e32 vcc_lo, v[0:1], v[54:55]
	s_or_not1_b32 s42, vcc_lo, exec_lo
	s_branch .LBB19_85
.LBB19_90:                              ;   in Loop: Header=BB19_53 Depth=2
	s_or_b32 exec_lo, exec_lo, s12
	s_xor_b32 s9, s29, -1
	s_delay_alu instid0(SALU_CYCLE_1) | instskip(NEXT) | instid1(SALU_CYCLE_1)
	s_and_saveexec_b32 s12, s9
	s_xor_b32 s9, exec_lo, s12
	s_cbranch_execz .LBB19_92
; %bb.91:                               ;   in Loop: Header=BB19_53 Depth=2
	s_wait_loadcnt_dscnt 0x0
	ds_store_b32 v0, v14
	s_trap 2
	ds_load_b32 v10, v0 offset:16
	s_wait_dscnt 0x0
	v_dual_ashrrev_i32 v11, 31, v10 :: v_dual_bitop2_b32 v35, 64, v35 bitop3:0x54
.LBB19_92:                              ;   in Loop: Header=BB19_53 Depth=2
	s_or_b32 exec_lo, exec_lo, s9
	s_delay_alu instid0(VALU_DEP_1)
	v_mov_b64_e32 v[4:5], v[10:11]
.LBB19_93:                              ;   in Loop: Header=BB19_53 Depth=2
	s_or_b32 exec_lo, exec_lo, s11
	ds_load_b32 v6, v0 offset:8
	ds_load_b32 v10, v44 offset:64
	v_add_nc_u64_e32 v[4:5], v[70:71], v[4:5]
	s_wait_dscnt 0x2
	ds_load_b64 v[8:9], v44 offset:56
	s_mov_b32 s9, exec_lo
	s_wait_dscnt 0x2
	v_add_nc_u32_e32 v6, v6, v82
	s_delay_alu instid0(VALU_DEP_1) | instskip(SKIP_1) | instid1(VALU_DEP_1)
	v_ashrrev_i32_e32 v7, 31, v6
	s_wait_dscnt 0x1
	v_mad_nc_u64_u32 v[6:7], v4, v10, v[6:7]
	s_delay_alu instid0(VALU_DEP_1) | instskip(SKIP_1) | instid1(VALU_DEP_1)
	v_mad_u32 v5, v5, v10, v7
	v_ashrrev_i32_e32 v7, 31, v10
	v_mad_u32 v7, v4, v7, v5
                                        ; implicit-def: $vgpr4_vgpr5
	s_wait_dscnt 0x0
	s_delay_alu instid0(VALU_DEP_1)
	v_cmpx_ge_u64_e64 v[8:9], v[6:7]
	s_xor_b32 s9, exec_lo, s9
; %bb.94:                               ;   in Loop: Header=BB19_53 Depth=2
	ds_load_b64 v[4:5], v0 offset:720
; %bb.95:                               ;   in Loop: Header=BB19_53 Depth=2
	s_and_not1_saveexec_b32 s9, s9
	s_cbranch_execz .LBB19_97
; %bb.96:                               ;   in Loop: Header=BB19_53 Depth=2
	s_wait_dscnt 0x0
	ds_load_b64 v[4:5], v0 offset:48
	s_wait_dscnt 0x0
	v_add_nc_u64_e32 v[4:5], v[2:3], v[4:5]
.LBB19_97:                              ;   in Loop: Header=BB19_53 Depth=2
	s_or_b32 exec_lo, exec_lo, s9
	s_wait_dscnt 0x0
	ds_store_b64 v119, v[4:5]
.LBB19_98:                              ;   in Loop: Header=BB19_53 Depth=2
	s_or_b32 exec_lo, exec_lo, s10
	v_and_b32_e32 v4, 8, v35
	s_delay_alu instid0(VALU_DEP_1) | instskip(SKIP_1) | instid1(SALU_CYCLE_1)
	v_cmp_ne_u32_e32 vcc_lo, 0, v4
	s_and_b32 s9, s28, vcc_lo
	s_and_saveexec_b32 s10, s9
	s_cbranch_execz .LBB19_114
; %bb.99:                               ;   in Loop: Header=BB19_53 Depth=2
	ds_load_b64 v[4:5], v44 offset:48
	s_mov_b32 s11, exec_lo
	s_wait_dscnt 0x0
	v_add_nc_u64_e32 v[6:7], 8, v[4:5]
	v_add_nc_u64_e32 v[4:5], 1, v[70:71]
	s_delay_alu instid0(VALU_DEP_1)
	v_cmpx_lt_u64_e64 v[6:7], v[4:5]
	s_cbranch_execz .LBB19_113
; %bb.100:                              ;   in Loop: Header=BB19_53 Depth=2
	v_and_b32_e32 v6, 64, v35
	s_mov_b32 s12, 0
	s_mov_b32 s42, 0
                                        ; implicit-def: $sgpr29
                                        ; implicit-def: $sgpr40
                                        ; implicit-def: $sgpr41
	s_delay_alu instid0(VALU_DEP_1)
	v_cmp_eq_u32_e32 vcc_lo, 0, v6
	s_branch .LBB19_103
.LBB19_101:                             ;   in Loop: Header=BB19_103 Depth=3
	s_or_b32 exec_lo, exec_lo, s47
	s_delay_alu instid0(SALU_CYCLE_1)
	s_and_not1_b32 s9, s41, exec_lo
	s_and_b32 s41, s45, exec_lo
	s_and_not1_b32 s40, s40, exec_lo
	s_and_b32 s44, s44, exec_lo
	s_or_b32 s41, s9, s41
	s_or_b32 s40, s40, s44
.LBB19_102:                             ;   in Loop: Header=BB19_103 Depth=3
	s_or_b32 exec_lo, exec_lo, s43
	s_delay_alu instid0(SALU_CYCLE_1) | instskip(NEXT) | instid1(SALU_CYCLE_1)
	s_and_b32 s9, exec_lo, s40
	s_or_b32 s12, s9, s12
	s_and_not1_b32 s9, s29, exec_lo
	s_and_b32 s29, s41, exec_lo
	s_delay_alu instid0(SALU_CYCLE_1)
	s_or_b32 s29, s9, s29
	s_and_not1_b32 exec_lo, exec_lo, s12
	s_cbranch_execz .LBB19_110
.LBB19_103:                             ;   Parent Loop BB19_4 Depth=1
                                        ;     Parent Loop BB19_53 Depth=2
                                        ; =>    This Inner Loop Header: Depth=3
	s_wait_dscnt 0x0
	ds_load_b64 v[6:7], v44 offset:32
	s_or_b32 s41, s41, exec_lo
	s_or_b32 s40, s40, exec_lo
                                        ; implicit-def: $vgpr8
	s_wait_dscnt 0x0
	flat_load_b64 v[6:7], v[6:7] scope:SCOPE_SYS
	s_wait_loadcnt_dscnt 0x0
	ds_store_b64 v44, v[6:7] offset:48
	s_wait_xcnt 0x0
	s_and_saveexec_b32 s43, vcc_lo
	s_cbranch_execz .LBB19_102
; %bb.104:                              ;   in Loop: Header=BB19_103 Depth=3
	s_cmp_gt_i32 s42, 0x270e
	s_mov_b32 s44, -1
	s_cbranch_scc0 .LBB19_108
; %bb.105:                              ;   in Loop: Header=BB19_103 Depth=3
	s_trap 2
	ds_load_b64 v[6:7], v0
	s_mov_b32 s45, 0
	s_mov_b32 s46, 0
	s_mov_b32 s42, exec_lo
	s_wait_dscnt 0x0
	flat_load_b32 v8, v[6:7] scope:SCOPE_SYS
	s_wait_loadcnt_dscnt 0x0
	global_inv scope:SCOPE_SYS
                                        ; implicit-def: $vgpr6_vgpr7
	s_wait_xcnt 0x0
	v_cmpx_eq_u32_e32 0, v8
; %bb.106:                              ;   in Loop: Header=BB19_103 Depth=3
	ds_load_b64 v[6:7], v44 offset:48
	s_mov_b32 s46, exec_lo
; %bb.107:                              ;   in Loop: Header=BB19_103 Depth=3
	s_or_b32 exec_lo, exec_lo, s42
	s_mov_b32 s42, 0
	s_and_saveexec_b32 s47, s46
	s_cbranch_execz .LBB19_101
	s_branch .LBB19_109
.LBB19_108:                             ;   in Loop: Header=BB19_103 Depth=3
	s_add_co_i32 s42, s42, 1
	s_mov_b32 s46, -1
	s_mov_b32 s45, -1
                                        ; implicit-def: $vgpr8
	s_and_saveexec_b32 s47, s46
	s_cbranch_execz .LBB19_101
.LBB19_109:                             ;   in Loop: Header=BB19_103 Depth=3
	s_wait_dscnt 0x0
	v_add_nc_u64_e32 v[6:7], 8, v[6:7]
	s_or_b32 s45, s45, exec_lo
	s_delay_alu instid0(VALU_DEP_1)
	v_cmp_ge_u64_e64 s9, v[6:7], v[4:5]
	s_or_not1_b32 s44, s9, exec_lo
	s_branch .LBB19_101
.LBB19_110:                             ;   in Loop: Header=BB19_53 Depth=2
	s_or_b32 exec_lo, exec_lo, s12
	s_xor_b32 s9, s29, -1
	s_delay_alu instid0(SALU_CYCLE_1) | instskip(NEXT) | instid1(SALU_CYCLE_1)
	s_and_saveexec_b32 s12, s9
	s_xor_b32 s9, exec_lo, s12
	s_cbranch_execz .LBB19_112
; %bb.111:                              ;   in Loop: Header=BB19_53 Depth=2
	v_or_b32_e32 v35, 64, v35
	s_wait_loadcnt_dscnt 0x0
	ds_store_b32 v0, v8
	s_trap 2
.LBB19_112:                             ;   in Loop: Header=BB19_53 Depth=2
	s_or_b32 exec_lo, exec_lo, s9
.LBB19_113:                             ;   in Loop: Header=BB19_53 Depth=2
	s_delay_alu instid0(SALU_CYCLE_1)
	s_or_b32 exec_lo, exec_lo, s11
	ds_load_b64 v[4:5], v44 offset:24
	s_wait_dscnt 0x1
	ds_load_b32 v7, v44 offset:64
	ds_load_b32 v6, v0 offset:12
	v_and_b32_e32 v8, 7, v70
	s_wait_dscnt 0x1
	s_delay_alu instid0(VALU_DEP_1) | instskip(SKIP_2) | instid1(VALU_DEP_1)
	v_mad_nc_i64_i32 v[4:5], v8, v7, v[4:5]
	s_wait_dscnt 0x0
	v_ashrrev_i32_e32 v7, 31, v6
	v_add_nc_u64_e32 v[4:5], v[4:5], v[6:7]
	ds_store_b64 v40, v[4:5]
.LBB19_114:                             ;   in Loop: Header=BB19_53 Depth=2
	s_or_b32 exec_lo, exec_lo, s10
	s_trap 2
	ds_load_b32 v4, v0
	ds_load_b64 v[96:97], v0
	v_and_b32_e32 v5, 1, v35
	s_delay_alu instid0(VALU_DEP_1) | instskip(SKIP_3) | instid1(SALU_CYCLE_1)
	v_cmp_eq_u32_e64 s9, 1, v5
	s_wait_dscnt 0x1
	v_cmp_gt_i32_e32 vcc_lo, 0, v4
	s_and_b32 s11, vcc_lo, s9
	s_and_saveexec_b32 s10, s11
	s_cbranch_execnz .LBB19_124
; %bb.115:                              ;   in Loop: Header=BB19_53 Depth=2
	s_or_b32 exec_lo, exec_lo, s10
	s_and_saveexec_b32 s10, s6
	s_delay_alu instid0(SALU_CYCLE_1)
	s_xor_b32 s10, exec_lo, s10
	s_cbranch_execnz .LBB19_127
.LBB19_116:                             ;   in Loop: Header=BB19_53 Depth=2
	s_and_not1_saveexec_b32 s10, s10
	s_cbranch_execz .LBB19_118
.LBB19_117:                             ;   in Loop: Header=BB19_53 Depth=2
	global_wb scope:SCOPE_DEV
	s_wait_storecnt 0x0
	s_wait_loadcnt_dscnt 0x0
	global_inv scope:SCOPE_DEV
	s_barrier_signal -1
	s_barrier_wait -1
.LBB19_118:                             ;   in Loop: Header=BB19_53 Depth=2
	s_or_b32 exec_lo, exec_lo, s10
	ds_load_b32 v5, v0 offset:4
	ds_load_2addr_b64 v[0:3], v0 offset0:90 offset1:99
	s_trap 2
	s_mov_b32 s11, -1
	s_wait_dscnt 0x0
	ds_load_b32 v4, v0
	s_and_saveexec_b32 s10, s7
	s_cbranch_execz .LBB19_120
; %bb.119:                              ;   in Loop: Header=BB19_53 Depth=2
	ds_load_b32 v6, v42 offset:720
	s_wait_dscnt 0x0
	v_and_b32_e32 v6, 15, v6
	s_delay_alu instid0(VALU_DEP_1)
	v_cmp_eq_u32_e32 vcc_lo, 0, v6
	s_or_not1_b32 s11, vcc_lo, exec_lo
.LBB19_120:                             ;   in Loop: Header=BB19_53 Depth=2
	s_or_b32 exec_lo, exec_lo, s10
	v_cmp_gt_i32_e64 s10, 0, v5
	v_cmp_eq_u64_e32 vcc_lo, v[0:1], v[2:3]
	s_mov_b32 s12, exec_lo
	v_cndmask_b32_e64 v5, 2, 1, s10
	v_cndmask_b32_e64 v83, v40, v119, s10
	s_delay_alu instid0(VALU_DEP_2) | instskip(NEXT) | instid1(VALU_DEP_1)
	v_subrev_co_ci_u32_e64 v45, null, 0, v5, vcc_lo
	v_cmpx_lt_i32_e64 v118, v45
	s_cbranch_execz .LBB19_122
; %bb.121:                              ;   in Loop: Header=BB19_53 Depth=2
	s_delay_alu instid0(VALU_DEP_3) | instskip(SKIP_3) | instid1(VALU_DEP_1)
	v_lshl_add_u32 v2, v118, 3, v83
	ds_load_b32 v2, v2
	s_wait_dscnt 0x0
	v_and_b32_e32 v2, 15, v2
	v_cmp_eq_u32_e32 vcc_lo, 0, v2
	s_and_b32 s29, s11, vcc_lo
	s_and_not1_b32 s11, s11, exec_lo
	s_and_b32 s29, s29, exec_lo
	s_delay_alu instid0(SALU_CYCLE_1)
	s_or_b32 s11, s11, s29
.LBB19_122:                             ;   in Loop: Header=BB19_53 Depth=2
	s_or_b32 exec_lo, exec_lo, s12
	s_xor_b32 s11, s11, -1
	v_mov_b32_e32 v6, 0
	v_cndmask_b32_e64 v2, 0, 1, s11
	s_wait_dscnt 0x0
	v_cmp_eq_u32_e64 s11, 0, v4
	s_delay_alu instid0(VALU_DEP_2) | instskip(NEXT) | instid1(VALU_DEP_2)
	v_cmp_ne_u32_e32 vcc_lo, 0, v2
	v_cndmask_b32_e64 v46, 0, v82, s11
	s_mov_b32 s11, -1
	s_cbranch_vccz .LBB19_137
; %bb.123:                              ;   in Loop: Header=BB19_53 Depth=2
	v_dual_mov_b32 v7, v116 :: v_dual_mov_b32 v2, v117
	s_and_saveexec_b32 s12, s11
	s_cbranch_execnz .LBB19_177
	s_branch .LBB19_189
.LBB19_124:                             ;   in Loop: Header=BB19_53 Depth=2
	ds_load_b64 v[6:7], v0 offset:40
	v_mov_b32_e32 v83, v34
	s_mov_b32 s11, exec_lo
	s_wait_dscnt 0x0
	s_delay_alu instid0(VALU_DEP_1)
	v_add_nc_u64_e32 v[4:5], v[6:7], v[82:83]
	v_add_nc_u64_e32 v[0:1], v[0:1], v[6:7]
	ds_store_b64 v0, v[0:1] offset:720
	v_cmpx_lt_u64_e64 v[96:97], v[4:5]
	s_cbranch_execz .LBB19_126
; %bb.125:                              ;   in Loop: Header=BB19_53 Depth=2
	ds_load_b64 v[0:1], v0 offset:48
	v_mov_b64_e32 v[96:97], v[4:5]
	s_wait_dscnt 0x0
	v_add_nc_u64_e32 v[0:1], v[2:3], v[0:1]
.LBB19_126:                             ;   in Loop: Header=BB19_53 Depth=2
	s_or_b32 exec_lo, exec_lo, s11
	ds_store_b64 v119, v[0:1]
	s_or_b32 exec_lo, exec_lo, s10
	s_and_saveexec_b32 s10, s6
	s_delay_alu instid0(SALU_CYCLE_1)
	s_xor_b32 s10, exec_lo, s10
	s_cbranch_execz .LBB19_116
.LBB19_127:                             ;   in Loop: Header=BB19_53 Depth=2
	s_and_saveexec_b32 s11, s24
	s_cbranch_execz .LBB19_167
; %bb.128:                              ;   in Loop: Header=BB19_53 Depth=2
	s_mov_b32 s29, exec_lo
	s_mov_b32 s12, exec_lo
	v_mbcnt_lo_u32_b32 v0, s29, 0
	global_wb scope:SCOPE_DEV
	s_wait_storecnt 0x0
	s_wait_loadcnt_dscnt 0x0
	global_inv scope:SCOPE_DEV
	v_cmpx_eq_u32_e32 0, v0
	s_cbranch_execz .LBB19_130
; %bb.129:                              ;   in Loop: Header=BB19_53 Depth=2
	s_bcnt1_i32_b32 s29, s29
	s_delay_alu instid0(SALU_CYCLE_1)
	v_dual_mov_b32 v1, v34 :: v_dual_mov_b32 v0, s29
	s_wait_loadcnt 0x0
	ds_add_u64 v0, v[0:1]
	s_trap 2
.LBB19_130:                             ;   in Loop: Header=BB19_53 Depth=2
	s_or_b32 exec_lo, exec_lo, s12
	s_trap 2
	ds_load_b64 v[0:1], v0
	s_wait_dscnt 0x0
	v_add_nc_u64_e32 v[54:55], 4, v[54:55]
	s_mov_b32 s12, exec_lo
	s_delay_alu instid0(VALU_DEP_1)
	v_cmpx_lt_u64_e64 v[0:1], v[54:55]
	s_cbranch_execz .LBB19_166
; %bb.131:                              ;   in Loop: Header=BB19_53 Depth=2
	s_mov_b32 s29, 0
	s_mov_b32 s42, 0
                                        ; implicit-def: $sgpr40
                                        ; implicit-def: $sgpr41
	s_branch .LBB19_133
.LBB19_132:                             ;   in Loop: Header=BB19_133 Depth=3
	s_or_b32 exec_lo, exec_lo, s44
	s_delay_alu instid0(SALU_CYCLE_1) | instskip(NEXT) | instid1(SALU_CYCLE_1)
	s_and_b32 s43, exec_lo, s45
	s_or_b32 s29, s43, s29
	s_and_not1_b32 s40, s40, exec_lo
	s_and_b32 s43, s41, exec_lo
	s_delay_alu instid0(SALU_CYCLE_1)
	s_or_b32 s40, s40, s43
	s_and_not1_b32 exec_lo, exec_lo, s29
	s_cbranch_execz .LBB19_164
.LBB19_133:                             ;   Parent Loop BB19_4 Depth=1
                                        ;     Parent Loop BB19_53 Depth=2
                                        ; =>    This Inner Loop Header: Depth=3
	s_add_co_i32 s42, s42, 1
	s_delay_alu instid0(SALU_CYCLE_1) | instskip(SKIP_1) | instid1(SALU_CYCLE_1)
	s_cmp_lg_u32 s42, 0x2710
	s_cselect_b32 s43, -1, 0
	s_and_b32 vcc_lo, exec_lo, s43
	s_cbranch_vccz .LBB19_135
; %bb.134:                              ;   in Loop: Header=BB19_133 Depth=3
	s_mov_b32 s45, -1
	s_or_b32 s41, s41, exec_lo
	s_and_saveexec_b32 s44, s43
	s_cbranch_execz .LBB19_132
	s_branch .LBB19_136
.LBB19_135:                             ;   in Loop: Header=BB19_133 Depth=3
	s_trap 2
	ds_load_b64 v[0:1], v0
	s_and_not1_b32 s43, s43, exec_lo
	s_mov_b32 s42, 0
	s_wait_loadcnt_dscnt 0x0
	flat_load_b32 v0, v[0:1] scope:SCOPE_SYS
	s_wait_loadcnt_dscnt 0x0
	global_inv scope:SCOPE_SYS
	v_cmp_eq_u32_e32 vcc_lo, 0, v0
	s_and_b32 s44, vcc_lo, exec_lo
	s_delay_alu instid0(SALU_CYCLE_1)
	s_or_b32 s43, s43, s44
	s_mov_b32 s45, -1
	s_or_b32 s41, s41, exec_lo
	s_and_saveexec_b32 s44, s43
	s_cbranch_execz .LBB19_132
.LBB19_136:                             ;   in Loop: Header=BB19_133 Depth=3
	s_sleep 1
	s_trap 2
	ds_load_b64 v[0:1], v0
	s_wait_dscnt 0x0
	s_and_not1_b32 s41, s41, exec_lo
	v_cmp_ge_u64_e32 vcc_lo, v[0:1], v[54:55]
	s_or_not1_b32 s45, vcc_lo, exec_lo
	s_branch .LBB19_132
.LBB19_137:                             ;   in Loop: Header=BB19_53 Depth=2
	s_delay_alu instid0(VALU_DEP_1) | instskip(SKIP_1) | instid1(VALU_DEP_1)
	v_lshrrev_b32_e32 v2, 12, v46
	s_mov_b32 s12, exec_lo
	v_sub_nc_u32_e32 v47, v2, v117
	s_delay_alu instid0(VALU_DEP_1)
	v_cmpx_lt_i32_e32 0, v47
	s_cbranch_execz .LBB19_143
; %bb.138:                              ;   in Loop: Header=BB19_53 Depth=2
	ds_load_b64 v[98:99], v83
	v_mov_b64_e32 v[100:101], v[80:81]
	s_mov_b32 s29, 0
	v_cmp_lt_u32_e32 vcc_lo, 1, v45
	s_branch .LBB19_140
.LBB19_139:                             ;   in Loop: Header=BB19_140 Depth=3
	s_wait_xcnt 0x0
	s_or_b32 exec_lo, exec_lo, s11
	v_sub_nc_u32_e32 v47, v47, v50
	v_add_nc_u64_e32 v[100:101], v[100:101], v[64:65]
	s_delay_alu instid0(VALU_DEP_2) | instskip(SKIP_1) | instid1(SALU_CYCLE_1)
	v_cmp_gt_i32_e64 s11, 1, v47
	s_or_b32 s29, s11, s29
	s_and_not1_b32 exec_lo, exec_lo, s29
	s_cbranch_execz .LBB19_142
.LBB19_140:                             ;   Parent Loop BB19_4 Depth=1
                                        ;     Parent Loop BB19_53 Depth=2
                                        ; =>    This Inner Loop Header: Depth=3
	s_delay_alu instid0(VALU_DEP_2)
	v_add_nc_u64_e32 v[2:3], v[0:1], v[100:101]
	s_wait_dscnt 0x0
	v_add_nc_u64_e32 v[56:57], v[98:99], v[100:101]
	s_clause 0x7
	global_load_b128 v[30:33], v[2:3], off offset:-3584 th:TH_LOAD_NT
	global_load_b128 v[26:29], v[2:3], off offset:-3072 th:TH_LOAD_NT
	;; [unrolled: 1-line block ×7, first 2 shown]
	global_load_b128 v[2:5], v[2:3], off th:TH_LOAD_NT
	s_wait_loadcnt 0x7
	global_store_b128 v[56:57], v[30:33], off offset:-3584 th:TH_STORE_NT
	s_wait_loadcnt 0x6
	global_store_b128 v[56:57], v[26:29], off offset:-3072 th:TH_STORE_NT
	;; [unrolled: 2-line block ×7, first 2 shown]
	s_wait_loadcnt 0x0
	global_store_b128 v[56:57], v[2:5], off th:TH_STORE_NT
	s_wait_xcnt 0x0
	s_and_saveexec_b32 s11, vcc_lo
	s_cbranch_execz .LBB19_139
; %bb.141:                              ;   in Loop: Header=BB19_140 Depth=3
	ds_load_b64 v[56:57], v83 offset:8
	s_wait_dscnt 0x0
	v_add_nc_u64_e32 v[56:57], v[100:101], v[56:57]
	s_clause 0x7
	global_store_b128 v[56:57], v[30:33], off offset:-3584 th:TH_STORE_NT
	global_store_b128 v[56:57], v[26:29], off offset:-3072 th:TH_STORE_NT
	;; [unrolled: 1-line block ×7, first 2 shown]
	global_store_b128 v[56:57], v[2:5], off th:TH_STORE_NT
	s_branch .LBB19_139
.LBB19_142:                             ;   in Loop: Header=BB19_53 Depth=2
	s_or_b32 exec_lo, exec_lo, s29
.LBB19_143:                             ;   in Loop: Header=BB19_53 Depth=2
	s_delay_alu instid0(SALU_CYCLE_1) | instskip(SKIP_4) | instid1(VALU_DEP_2)
	s_or_b32 exec_lo, exec_lo, s12
	v_and_b32_e32 v4, 0xfff, v46
	v_mov_b32_e32 v6, 0
	s_mov_b32 s11, 0
	s_mov_b32 s29, exec_lo
                                        ; implicit-def: $vgpr3
                                        ; implicit-def: $vgpr7
                                        ; implicit-def: $vgpr2
	v_cmpx_ne_u32_e32 0, v4
	s_cbranch_execz .LBB19_176
; %bb.144:                              ;   in Loop: Header=BB19_53 Depth=2
	v_lshlrev_b32_e32 v2, 5, v47
	v_and_b32_e32 v12, 0x1ff, v46
	s_mov_b32 s40, exec_lo
	s_delay_alu instid0(VALU_DEP_2) | instskip(NEXT) | instid1(VALU_DEP_2)
	v_sub_nc_u32_e32 v2, v118, v2
	v_cmp_lt_u32_e32 vcc_lo, 15, v12
	s_delay_alu instid0(VALU_DEP_2) | instskip(NEXT) | instid1(VALU_DEP_1)
	v_ashrrev_i32_e32 v3, 31, v2
	v_lshrrev_b32_e32 v3, 27, v3
	s_delay_alu instid0(VALU_DEP_1) | instskip(NEXT) | instid1(VALU_DEP_1)
	v_add_nc_u32_e32 v3, v2, v3
	v_and_b32_e32 v5, 0xffffffe0, v3
	s_delay_alu instid0(VALU_DEP_1) | instskip(NEXT) | instid1(VALU_DEP_1)
	v_dual_sub_nc_u32 v10, v2, v5 :: v_dual_lshrrev_b32 v5, 9, v4
	v_dual_lshlrev_b32 v2, 4, v10 :: v_dual_ashrrev_i32 v3, 5, v3
	s_delay_alu instid0(VALU_DEP_2) | instskip(NEXT) | instid1(VALU_DEP_2)
	v_add_co_ci_u32_e64 v5, null, 0, v5, vcc_lo
	v_lshl_add_u32 v2, v3, 9, v2
	s_delay_alu instid0(VALU_DEP_1) | instskip(NEXT) | instid1(VALU_DEP_1)
	v_dual_sub_nc_u32 v13, v4, v2 :: v_dual_sub_nc_u32 v11, v5, v3
	v_cmpx_lt_i32_e32 15, v13
	s_cbranch_execz .LBB19_173
; %bb.145:                              ;   in Loop: Header=BB19_53 Depth=2
	ds_load_b64 v[6:7], v83
	v_and_b32_e32 v3, 0x7ffff000, v46
	v_cmp_lt_u32_e64 s11, 1, v45
	s_mov_b32 s41, 0
	v_add_nc_u32_e32 v8, v2, v3
	s_delay_alu instid0(VALU_DEP_1)
	v_ashrrev_i32_e32 v9, 31, v8
	s_branch .LBB19_147
.LBB19_146:                             ;   in Loop: Header=BB19_147 Depth=3
	s_wait_xcnt 0x0
	s_or_b32 exec_lo, exec_lo, s12
	v_sub_nc_u32_e32 v13, v13, v66
	v_add_nc_u64_e32 v[8:9], v[8:9], v[66:67]
	v_sub_nc_u32_e32 v11, v11, v50
	s_delay_alu instid0(VALU_DEP_3) | instskip(SKIP_1) | instid1(SALU_CYCLE_1)
	v_cmp_gt_i32_e64 s12, 16, v13
	s_or_b32 s41, s12, s41
	s_and_not1_b32 exec_lo, exec_lo, s41
	s_cbranch_execz .LBB19_172
.LBB19_147:                             ;   Parent Loop BB19_4 Depth=1
                                        ;     Parent Loop BB19_53 Depth=2
                                        ; =>    This Inner Loop Header: Depth=3
	s_delay_alu instid0(VALU_DEP_1)
	v_add_nc_u64_e32 v[2:3], v[0:1], v[8:9]
	s_wait_dscnt 0x0
	v_add_nc_u64_e32 v[14:15], v[6:7], v[8:9]
	global_load_b128 v[2:5], v[2:3], off th:TH_LOAD_NT
	s_wait_loadcnt 0x0
	global_store_b128 v[14:15], v[2:5], off th:TH_STORE_NT
	s_wait_xcnt 0x0
	s_and_saveexec_b32 s12, s11
	s_cbranch_execz .LBB19_146
; %bb.148:                              ;   in Loop: Header=BB19_147 Depth=3
	ds_load_b64 v[14:15], v83 offset:8
	s_wait_dscnt 0x0
	v_add_nc_u64_e32 v[14:15], v[8:9], v[14:15]
	global_store_b128 v[14:15], v[2:5], off th:TH_STORE_NT
	s_branch .LBB19_146
.LBB19_149:                             ;   in Loop: Header=BB19_53 Depth=2
	s_or_b32 exec_lo, exec_lo, s26
	s_and_saveexec_b32 s26, s27
	s_delay_alu instid0(SALU_CYCLE_1)
	s_xor_b32 s26, exec_lo, s26
	s_cbranch_execz .LBB19_151
; %bb.150:                              ;   in Loop: Header=BB19_53 Depth=2
	ds_store_b32 v0, v112
	s_trap 2
.LBB19_151:                             ;   in Loop: Header=BB19_53 Depth=2
	s_or_b32 exec_lo, exec_lo, s12
	;;#ASMSTART
	s_wakeup
	;;#ASMEND
.LBB19_152:                             ;   in Loop: Header=BB19_53 Depth=2
	s_or_b32 exec_lo, exec_lo, s11
	s_and_not1_saveexec_b32 s10, s10
	s_cbranch_execz .LBB19_60
.LBB19_153:                             ;   in Loop: Header=BB19_53 Depth=2
	global_wb scope:SCOPE_DEV
	s_wait_storecnt 0x0
	s_wait_loadcnt_dscnt 0x0
	global_inv scope:SCOPE_DEV
	s_barrier_signal -1
	s_barrier_wait -1
	s_or_b32 exec_lo, exec_lo, s10
	s_and_saveexec_b32 s10, s6
	s_delay_alu instid0(SALU_CYCLE_1)
	s_xor_b32 s10, exec_lo, s10
	s_cbranch_execz .LBB19_61
.LBB19_154:                             ;   in Loop: Header=BB19_53 Depth=2
	s_and_saveexec_b32 s11, s24
	s_cbranch_execz .LBB19_171
; %bb.155:                              ;   in Loop: Header=BB19_53 Depth=2
	s_mov_b32 s26, exec_lo
	s_mov_b32 s12, exec_lo
	v_mbcnt_lo_u32_b32 v0, s26, 0
	global_wb scope:SCOPE_DEV
	s_wait_storecnt 0x0
	s_wait_loadcnt_dscnt 0x0
	global_inv scope:SCOPE_DEV
	v_cmpx_eq_u32_e32 0, v0
	s_cbranch_execz .LBB19_157
; %bb.156:                              ;   in Loop: Header=BB19_53 Depth=2
	s_bcnt1_i32_b32 s26, s26
	s_delay_alu instid0(SALU_CYCLE_1)
	v_dual_mov_b32 v1, v34 :: v_dual_mov_b32 v0, s26
	s_wait_loadcnt 0x0
	ds_add_u64 v0, v[0:1]
	s_trap 2
.LBB19_157:                             ;   in Loop: Header=BB19_53 Depth=2
	s_or_b32 exec_lo, exec_lo, s12
	s_trap 2
	ds_load_b64 v[0:1], v0
	s_wait_dscnt 0x0
	v_add_nc_u64_e32 v[54:55], 4, v[54:55]
	s_mov_b32 s12, exec_lo
	s_delay_alu instid0(VALU_DEP_1)
	v_cmpx_lt_u64_e64 v[0:1], v[54:55]
	s_cbranch_execz .LBB19_170
; %bb.158:                              ;   in Loop: Header=BB19_53 Depth=2
	s_mov_b32 s26, 0
	s_mov_b32 s29, 0
                                        ; implicit-def: $sgpr27
                                        ; implicit-def: $sgpr28
	s_branch .LBB19_160
.LBB19_159:                             ;   in Loop: Header=BB19_160 Depth=3
	s_or_b32 exec_lo, exec_lo, s41
	s_delay_alu instid0(SALU_CYCLE_1) | instskip(NEXT) | instid1(SALU_CYCLE_1)
	s_and_b32 s40, exec_lo, s42
	s_or_b32 s26, s40, s26
	s_and_not1_b32 s27, s27, exec_lo
	s_and_b32 s40, s28, exec_lo
	s_delay_alu instid0(SALU_CYCLE_1)
	s_or_b32 s27, s27, s40
	s_and_not1_b32 exec_lo, exec_lo, s26
	s_cbranch_execz .LBB19_168
.LBB19_160:                             ;   Parent Loop BB19_4 Depth=1
                                        ;     Parent Loop BB19_53 Depth=2
                                        ; =>    This Inner Loop Header: Depth=3
	s_add_co_i32 s29, s29, 1
	s_delay_alu instid0(SALU_CYCLE_1) | instskip(SKIP_1) | instid1(SALU_CYCLE_1)
	s_cmp_lg_u32 s29, 0x2710
	s_cselect_b32 s40, -1, 0
	s_and_b32 vcc_lo, exec_lo, s40
	s_cbranch_vccz .LBB19_162
; %bb.161:                              ;   in Loop: Header=BB19_160 Depth=3
	s_mov_b32 s42, -1
	s_or_b32 s28, s28, exec_lo
	s_and_saveexec_b32 s41, s40
	s_cbranch_execz .LBB19_159
	s_branch .LBB19_163
.LBB19_162:                             ;   in Loop: Header=BB19_160 Depth=3
	s_trap 2
	ds_load_b64 v[0:1], v0
	s_and_not1_b32 s40, s40, exec_lo
	s_mov_b32 s29, 0
	s_wait_loadcnt_dscnt 0x0
	flat_load_b32 v0, v[0:1] scope:SCOPE_SYS
	s_wait_loadcnt_dscnt 0x0
	global_inv scope:SCOPE_SYS
	v_cmp_eq_u32_e32 vcc_lo, 0, v0
	s_and_b32 s41, vcc_lo, exec_lo
	s_delay_alu instid0(SALU_CYCLE_1)
	s_or_b32 s40, s40, s41
	s_mov_b32 s42, -1
	s_or_b32 s28, s28, exec_lo
	s_and_saveexec_b32 s41, s40
	s_cbranch_execz .LBB19_159
.LBB19_163:                             ;   in Loop: Header=BB19_160 Depth=3
	s_sleep 1
	s_trap 2
	ds_load_b64 v[0:1], v0
	s_wait_dscnt 0x0
	s_and_not1_b32 s28, s28, exec_lo
	v_cmp_ge_u64_e32 vcc_lo, v[0:1], v[54:55]
	s_or_not1_b32 s42, vcc_lo, exec_lo
	s_branch .LBB19_159
.LBB19_164:                             ;   in Loop: Header=BB19_53 Depth=2
	s_or_b32 exec_lo, exec_lo, s29
	s_and_saveexec_b32 s29, s40
	s_delay_alu instid0(SALU_CYCLE_1)
	s_xor_b32 s29, exec_lo, s29
	s_cbranch_execz .LBB19_166
; %bb.165:                              ;   in Loop: Header=BB19_53 Depth=2
	ds_store_b32 v0, v112
	s_trap 2
.LBB19_166:                             ;   in Loop: Header=BB19_53 Depth=2
	s_or_b32 exec_lo, exec_lo, s12
	;;#ASMSTART
	s_wakeup
	;;#ASMEND
.LBB19_167:                             ;   in Loop: Header=BB19_53 Depth=2
	s_or_b32 exec_lo, exec_lo, s11
	s_and_not1_saveexec_b32 s10, s10
	s_cbranch_execnz .LBB19_117
	s_branch .LBB19_118
.LBB19_168:                             ;   in Loop: Header=BB19_53 Depth=2
	s_or_b32 exec_lo, exec_lo, s26
	s_and_saveexec_b32 s26, s27
	s_delay_alu instid0(SALU_CYCLE_1)
	s_xor_b32 s26, exec_lo, s26
	s_cbranch_execz .LBB19_170
; %bb.169:                              ;   in Loop: Header=BB19_53 Depth=2
	ds_store_b32 v0, v112
	s_trap 2
.LBB19_170:                             ;   in Loop: Header=BB19_53 Depth=2
	s_or_b32 exec_lo, exec_lo, s12
	;;#ASMSTART
	s_wakeup
	;;#ASMEND
.LBB19_171:                             ;   in Loop: Header=BB19_53 Depth=2
	s_or_b32 exec_lo, exec_lo, s11
	s_and_not1_saveexec_b32 s10, s10
	s_cbranch_execnz .LBB19_62
	s_branch .LBB19_63
.LBB19_172:                             ;   in Loop: Header=BB19_53 Depth=2
	s_or_b32 exec_lo, exec_lo, s41
.LBB19_173:                             ;   in Loop: Header=BB19_53 Depth=2
	s_delay_alu instid0(SALU_CYCLE_1) | instskip(SKIP_3) | instid1(VALU_DEP_1)
	s_or_b32 exec_lo, exec_lo, s40
	v_dual_mov_b32 v6, 0 :: v_dual_bitop2_b32 v2, 15, v46 bitop3:0x40
	s_mov_b32 s12, 0
	s_mov_b32 s40, exec_lo
                                        ; implicit-def: $vgpr7
	v_cndmask_b32_e32 v3, v12, v2, vcc_lo
                                        ; implicit-def: $vgpr2
	s_delay_alu instid0(VALU_DEP_1)
	v_cmpx_ne_u32_e32 0, v3
	s_cbranch_execz .LBB19_175
; %bb.174:                              ;   in Loop: Header=BB19_53 Depth=2
	v_cmp_lt_i32_e64 s11, 0, v11
	v_cndmask_b32_e32 v4, 0x7ffffe00, v114, vcc_lo
	s_mov_b32 s12, exec_lo
	v_cndmask_b32_e64 v2, 0, v50, s11
	s_delay_alu instid0(VALU_DEP_1) | instskip(NEXT) | instid1(VALU_DEP_1)
	v_dual_sub_nc_u32 v2, v2, v11 :: v_dual_bitop2_b32 v6, v4, v46 bitop3:0x40
	v_lshl_add_u32 v7, v2, 5, v10
	s_delay_alu instid0(VALU_DEP_1) | instskip(NEXT) | instid1(VALU_DEP_1)
	v_ashrrev_i32_e32 v2, 31, v7
	v_lshrrev_b32_e32 v2, 27, v2
	s_delay_alu instid0(VALU_DEP_1) | instskip(NEXT) | instid1(VALU_DEP_1)
	v_add_nc_u32_e32 v2, v7, v2
	v_ashrrev_i32_e32 v2, 5, v2
.LBB19_175:                             ;   in Loop: Header=BB19_53 Depth=2
	s_or_b32 exec_lo, exec_lo, s40
	s_delay_alu instid0(SALU_CYCLE_1)
	s_and_b32 s11, s12, exec_lo
.LBB19_176:                             ;   in Loop: Header=BB19_53 Depth=2
	s_or_b32 exec_lo, exec_lo, s29
	v_mov_b32_e32 v46, v3
	s_and_saveexec_b32 s12, s11
	s_cbranch_execz .LBB19_189
.LBB19_177:                             ;   in Loop: Header=BB19_53 Depth=2
	s_delay_alu instid0(VALU_DEP_1) | instskip(SKIP_1) | instid1(VALU_DEP_1)
	v_lshrrev_b32_e32 v3, 10, v46
	s_mov_b32 s29, exec_lo
	v_dual_sub_nc_u32 v8, v3, v2 :: v_dual_ashrrev_i32 v3, 31, v7
	s_delay_alu instid0(VALU_DEP_1) | instskip(NEXT) | instid1(VALU_DEP_2)
	v_lshrrev_b32_e32 v9, 27, v3
	v_cmpx_lt_i32_e32 0, v8
	s_cbranch_execz .LBB19_183
; %bb.178:                              ;   in Loop: Header=BB19_53 Depth=2
	s_delay_alu instid0(VALU_DEP_2) | instskip(SKIP_2) | instid1(VALU_DEP_2)
	v_dual_add_nc_u32 v3, v7, v9 :: v_dual_lshlrev_b32 v5, 10, v2
	s_mov_b32 s40, 0
	v_cmp_lt_u32_e32 vcc_lo, 1, v45
	v_and_b32_e32 v3, 0xffffffe0, v3
	s_delay_alu instid0(VALU_DEP_1) | instskip(SKIP_2) | instid1(VALU_DEP_1)
	v_sub_nc_u32_e32 v4, v7, v3
	ds_load_b64 v[2:3], v83
	v_add3_u32 v4, v4, v5, v6
	v_ashrrev_i32_e32 v5, 31, v4
	s_delay_alu instid0(VALU_DEP_1)
	v_add_nc_u64_e32 v[4:5], 0x3e0, v[4:5]
	s_branch .LBB19_180
.LBB19_179:                             ;   in Loop: Header=BB19_180 Depth=3
	s_wait_xcnt 0x0
	s_or_b32 exec_lo, exec_lo, s11
	v_sub_nc_u32_e32 v8, v8, v50
	v_add_nc_u64_e32 v[4:5], v[4:5], v[68:69]
	s_delay_alu instid0(VALU_DEP_2) | instskip(SKIP_1) | instid1(SALU_CYCLE_1)
	v_cmp_gt_i32_e64 s11, 1, v8
	s_or_b32 s40, s11, s40
	s_and_not1_b32 exec_lo, exec_lo, s40
	s_cbranch_execz .LBB19_182
.LBB19_180:                             ;   Parent Loop BB19_4 Depth=1
                                        ;     Parent Loop BB19_53 Depth=2
                                        ; =>    This Inner Loop Header: Depth=3
	s_delay_alu instid0(VALU_DEP_1)
	v_add_nc_u64_e32 v[58:59], v[0:1], v[4:5]
	s_wait_dscnt 0x0
	v_add_nc_u64_e32 v[60:61], v[2:3], v[4:5]
	s_clause 0x1f
	flat_load_u8 v10, v[58:59] offset:-992 th:TH_LOAD_NT
	flat_load_u8 v11, v[58:59] offset:-960 th:TH_LOAD_NT
	;; [unrolled: 1-line block ×31, first 2 shown]
	flat_load_u8 v58, v[58:59] th:TH_LOAD_NT
	s_wait_loadcnt_dscnt 0x1f1f
	flat_store_b8 v[60:61], v10 offset:-992 th:TH_STORE_NT
	s_wait_loadcnt_dscnt 0x1e1f
	flat_store_b8 v[60:61], v11 offset:-960 th:TH_STORE_NT
	;; [unrolled: 2-line block ×31, first 2 shown]
	s_wait_loadcnt_dscnt 0x1f
	flat_store_b8 v[60:61], v58 th:TH_STORE_NT
	s_wait_xcnt 0x0
	s_and_saveexec_b32 s11, vcc_lo
	s_cbranch_execz .LBB19_179
; %bb.181:                              ;   in Loop: Header=BB19_180 Depth=3
	ds_load_b64 v[60:61], v83 offset:8
	s_wait_dscnt 0x0
	v_add_nc_u64_e32 v[60:61], v[4:5], v[60:61]
	s_clause 0x1f
	flat_store_b8 v[60:61], v10 offset:-992 th:TH_STORE_NT
	flat_store_b8 v[60:61], v11 offset:-960 th:TH_STORE_NT
	;; [unrolled: 1-line block ×31, first 2 shown]
	flat_store_b8 v[60:61], v58 th:TH_STORE_NT
	s_branch .LBB19_179
.LBB19_182:                             ;   in Loop: Header=BB19_53 Depth=2
	s_or_b32 exec_lo, exec_lo, s40
.LBB19_183:                             ;   in Loop: Header=BB19_53 Depth=2
	s_delay_alu instid0(SALU_CYCLE_1) | instskip(SKIP_1) | instid1(VALU_DEP_1)
	s_or_b32 exec_lo, exec_lo, s29
	v_and_b32_e32 v4, 0xfffffc00, v46
	v_cmp_ne_u32_e32 vcc_lo, v46, v4
	s_and_b32 exec_lo, exec_lo, vcc_lo
	s_cbranch_execz .LBB19_189
; %bb.184:                              ;   in Loop: Header=BB19_53 Depth=2
	v_dual_add_nc_u32 v0, v7, v9 :: v_dual_lshlrev_b32 v1, 5, v8
	s_delay_alu instid0(VALU_DEP_1) | instskip(NEXT) | instid1(VALU_DEP_1)
	v_and_b32_e32 v0, 0xffffffe0, v0
	v_sub_nc_u32_e32 v0, v7, v0
	s_delay_alu instid0(VALU_DEP_1) | instskip(SKIP_1) | instid1(VALU_DEP_1)
	v_sub_nc_u32_e32 v5, v0, v1
	v_and_b32_e32 v0, 0x3ff, v46
	v_sub_nc_u32_e32 v7, v0, v5
	s_delay_alu instid0(VALU_DEP_1)
	v_cmp_lt_i32_e32 vcc_lo, 0, v7
	s_and_b32 exec_lo, exec_lo, vcc_lo
	s_cbranch_execz .LBB19_189
; %bb.185:                              ;   in Loop: Header=BB19_53 Depth=2
	v_cndmask_b32_e64 v0, 0x310, v115, s10
	v_add3_u32 v4, v4, v6, v5
	s_mov_b32 s11, 0
	v_cmp_lt_u32_e32 vcc_lo, 1, v45
	s_delay_alu instid0(VALU_DEP_3) | instskip(NEXT) | instid1(VALU_DEP_3)
	v_add_nc_u32_e32 v0, v0, v0
	v_ashrrev_i32_e32 v5, 31, v4
	ds_load_b64 v[0:1], v0
	s_wait_dscnt 0x0
	ds_load_b64 v[2:3], v0 offset:720
	s_branch .LBB19_187
.LBB19_186:                             ;   in Loop: Header=BB19_187 Depth=3
	s_wait_xcnt 0x0
	s_or_b32 exec_lo, exec_lo, s10
	v_sub_nc_u32_e32 v7, v7, v52
	v_add_nc_u64_e32 v[4:5], v[4:5], v[52:53]
	s_delay_alu instid0(VALU_DEP_2) | instskip(SKIP_1) | instid1(SALU_CYCLE_1)
	v_cmp_gt_i32_e64 s10, 1, v7
	s_or_b32 s11, s10, s11
	s_and_not1_b32 exec_lo, exec_lo, s11
	s_cbranch_execz .LBB19_189
.LBB19_187:                             ;   Parent Loop BB19_4 Depth=1
                                        ;     Parent Loop BB19_53 Depth=2
                                        ; =>    This Inner Loop Header: Depth=3
	s_wait_dscnt 0x0
	v_add_nc_u64_e32 v[8:9], v[2:3], v[4:5]
	flat_load_u8 v6, v[8:9] th:TH_LOAD_NT
	s_wait_xcnt 0x0
	v_add_nc_u64_e32 v[8:9], v[0:1], v[4:5]
	s_wait_loadcnt_dscnt 0x0
	flat_store_b8 v[8:9], v6 th:TH_STORE_NT
	s_wait_xcnt 0x0
	s_and_saveexec_b32 s10, vcc_lo
	s_cbranch_execz .LBB19_186
; %bb.188:                              ;   in Loop: Header=BB19_187 Depth=3
	ds_load_b64 v[8:9], v83 offset:8
	s_wait_dscnt 0x0
	v_add_nc_u64_e32 v[8:9], v[4:5], v[8:9]
	flat_store_b8 v[8:9], v6 th:TH_STORE_NT
	s_branch .LBB19_186
.LBB19_189:                             ;   in Loop: Header=BB19_53 Depth=2
	s_or_b32 exec_lo, exec_lo, s12
	v_and_b32_e32 v0, 16, v35
	v_cmp_ne_u32_e32 vcc_lo, 0, v85
	s_delay_alu instid0(VALU_DEP_2) | instskip(SKIP_1) | instid1(SALU_CYCLE_1)
	v_cmp_ne_u32_e64 s10, 0, v0
	s_and_b32 s11, vcc_lo, s28
	s_and_b32 s11, s11, s10
	s_delay_alu instid0(SALU_CYCLE_1)
	s_and_saveexec_b32 s10, s11
	s_cbranch_execz .LBB19_193
; %bb.190:                              ;   in Loop: Header=BB19_53 Depth=2
	ds_load_b64 v[0:1], v44 offset:16
	s_mov_b32 s12, exec_lo
	s_wait_dscnt 0x0
	v_cmpx_ne_u64_e32 0, v[0:1]
	s_cbranch_execz .LBB19_192
; %bb.191:                              ;   in Loop: Header=BB19_53 Depth=2
	ds_load_b32 v2, v0 offset:12
	v_and_b32_e32 v3, 7, v70
	s_delay_alu instid0(VALU_DEP_1) | instskip(SKIP_2) | instid1(VALU_DEP_1)
	v_mad_nc_u64_u32 v[0:1], v3, 24, v[0:1]
	s_wait_dscnt 0x0
	v_add_nc_u32_e32 v2, v2, v82
	v_ashrrev_i32_e32 v3, 31, v2
	flat_store_b64 v[0:1], v[2:3] offset:8
.LBB19_192:                             ;   in Loop: Header=BB19_53 Depth=2
	s_wait_xcnt 0x0
	s_or_b32 exec_lo, exec_lo, s12
	ds_load_b64 v[0:1], v44 offset:8
	v_mov_b64_e32 v[70:71], v[86:87]
	ds_store_b64 v44, v[86:87]
	s_wait_dscnt 0x1
	flat_store_b64 v[0:1], v[86:87] offset:104 th:TH_STORE_NT
.LBB19_193:                             ;   in Loop: Header=BB19_53 Depth=2
	s_wait_xcnt 0x0
	s_or_b32 exec_lo, exec_lo, s10
	v_and_b32_e32 v0, 32, v35
	v_cmp_ne_u32_e32 vcc_lo, 0, v84
	s_delay_alu instid0(VALU_DEP_2) | instskip(SKIP_1) | instid1(SALU_CYCLE_1)
	v_cmp_ne_u32_e64 s10, 0, v0
	s_and_b32 s12, s27, vcc_lo
	s_and_b32 s10, s12, s10
	s_delay_alu instid0(SALU_CYCLE_1)
	s_and_saveexec_b32 s12, s10
	s_cbranch_execz .LBB19_195
; %bb.194:                              ;   in Loop: Header=BB19_53 Depth=2
	ds_load_b64 v[0:1], v44 offset:8
	v_add_nc_u64_e32 v[70:71], 1, v[70:71]
	ds_store_b64 v44, v[70:71]
	s_wait_dscnt 0x1
	flat_store_b64 v[0:1], v[70:71] offset:104 th:TH_STORE_NT
.LBB19_195:                             ;   in Loop: Header=BB19_53 Depth=2
	s_wait_xcnt 0x0
	s_or_b32 exec_lo, exec_lo, s12
	ds_load_b32 v0, v0
	s_mov_b32 s12, exec_lo
	s_wait_dscnt 0x0
	v_cmpx_lt_i32_e32 -1, v0
	s_xor_b32 s12, exec_lo, s12
	s_cbranch_execnz .LBB19_204
; %bb.196:                              ;   in Loop: Header=BB19_53 Depth=2
	s_and_not1_saveexec_b32 s12, s12
	s_cbranch_execnz .LBB19_207
.LBB19_197:                             ;   in Loop: Header=BB19_53 Depth=2
	s_or_b32 exec_lo, exec_lo, s12
	s_and_saveexec_b32 s9, s6
	s_delay_alu instid0(SALU_CYCLE_1)
	s_xor_b32 s9, exec_lo, s9
	s_cbranch_execnz .LBB19_213
.LBB19_198:                             ;   in Loop: Header=BB19_53 Depth=2
	s_and_not1_saveexec_b32 s9, s9
	s_cbranch_execnz .LBB19_227
.LBB19_199:                             ;   in Loop: Header=BB19_53 Depth=2
	s_or_b32 exec_lo, exec_lo, s9
	s_and_saveexec_b32 s9, s11
	s_cbranch_execnz .LBB19_228
.LBB19_200:                             ;   in Loop: Header=BB19_53 Depth=2
	s_or_b32 exec_lo, exec_lo, s9
	s_and_saveexec_b32 s9, s10
	s_cbranch_execz .LBB19_202
.LBB19_201:                             ;   in Loop: Header=BB19_53 Depth=2
	ds_load_b64 v[0:1], v44 offset:32
	s_wait_dscnt 0x0
	flat_store_b64 v[0:1], v[70:71] th:TH_STORE_NT
.LBB19_202:                             ;   in Loop: Header=BB19_53 Depth=2
	s_wait_xcnt 0x0
	s_or_b32 exec_lo, exec_lo, s9
	s_delay_alu instid0(SALU_CYCLE_1)
	s_or_b32 exec_lo, exec_lo, s26
	s_and_saveexec_b32 s9, s8
	s_cbranch_execz .LBB19_52
.LBB19_203:                             ;   in Loop: Header=BB19_53 Depth=2
	s_wait_storecnt 0x0
	s_wait_loadcnt_dscnt 0x0
	ds_store_b32 v0, v34 offset:36
	s_branch .LBB19_52
.LBB19_204:                             ;   in Loop: Header=BB19_53 Depth=2
	v_and_b32_e32 v0, 4, v35
	s_mov_b32 s27, exec_lo
	s_delay_alu instid0(VALU_DEP_1)
	v_cmpx_ne_u32_e32 0, v0
	s_cbranch_execz .LBB19_206
; %bb.205:                              ;   in Loop: Header=BB19_53 Depth=2
	ds_load_2addr_b32 v[0:1], v0 offset0:2 offset1:4
	ds_load_b32 v4, v44 offset:64
	s_wait_dscnt 0x1
	v_dual_mov_b32 v2, v1 :: v_dual_ashrrev_i32 v3, 31, v1
	v_add_nc_u32_e32 v0, v0, v82
	s_delay_alu instid0(VALU_DEP_2) | instskip(NEXT) | instid1(VALU_DEP_2)
	v_add_nc_u64_e32 v[2:3], v[70:71], v[2:3]
	v_ashrrev_i32_e32 v1, 31, v0
	s_wait_dscnt 0x0
	s_delay_alu instid0(VALU_DEP_1) | instskip(NEXT) | instid1(VALU_DEP_1)
	v_mad_nc_u64_u32 v[0:1], v2, v4, v[0:1]
	v_mad_u32 v1, v3, v4, v1
	v_ashrrev_i32_e32 v3, 31, v4
	s_delay_alu instid0(VALU_DEP_1)
	v_mad_u32 v1, v2, v3, v1
	ds_max_i64 v44, v[0:1] offset:56
.LBB19_206:                             ;   in Loop: Header=BB19_53 Depth=2
	s_or_b32 exec_lo, exec_lo, s27
                                        ; implicit-def: $vgpr96_vgpr97
	s_and_not1_saveexec_b32 s12, s12
	s_cbranch_execz .LBB19_197
.LBB19_207:                             ;   in Loop: Header=BB19_53 Depth=2
	s_and_saveexec_b32 s27, s9
	s_cbranch_execz .LBB19_212
; %bb.208:                              ;   in Loop: Header=BB19_53 Depth=2
	v_mov_b64_e32 v[0:1], 0x8000000000000000
	s_mov_b32 s9, exec_lo
.LBB19_209:                             ;   Parent Loop BB19_4 Depth=1
                                        ;     Parent Loop BB19_53 Depth=2
                                        ; =>    This Inner Loop Header: Depth=3
	s_delay_alu instid0(SALU_CYCLE_1) | instskip(NEXT) | instid1(SALU_CYCLE_1)
	s_ctz_i32_b32 s40, s9
	v_readlane_b32 s29, v97, s40
	v_readlane_b32 s28, v96, s40
	s_delay_alu instid0(VALU_DEP_1) | instskip(SKIP_1) | instid1(SALU_CYCLE_1)
	v_max_i64 v[0:1], v[0:1], s[28:29]
	s_lshl_b32 s28, 1, s40
	s_and_not1_b32 s9, s9, s28
	s_delay_alu instid0(SALU_CYCLE_1)
	s_cmp_lg_u32 s9, 0
	s_cbranch_scc1 .LBB19_209
; %bb.210:                              ;   in Loop: Header=BB19_53 Depth=2
	v_mbcnt_lo_u32_b32 v2, exec_lo, 0
	s_mov_b32 s9, exec_lo
	s_delay_alu instid0(VALU_DEP_1)
	v_cmpx_eq_u32_e32 0, v2
	s_xor_b32 s9, exec_lo, s9
	s_cbranch_execz .LBB19_212
; %bb.211:                              ;   in Loop: Header=BB19_53 Depth=2
	ds_max_i64 v0, v[0:1]
	s_trap 2
.LBB19_212:                             ;   in Loop: Header=BB19_53 Depth=2
	s_or_b32 exec_lo, exec_lo, s27
	s_delay_alu instid0(SALU_CYCLE_1) | instskip(SKIP_1) | instid1(SALU_CYCLE_1)
	s_or_b32 exec_lo, exec_lo, s12
	s_and_saveexec_b32 s9, s6
	s_xor_b32 s9, exec_lo, s9
	s_cbranch_execz .LBB19_198
.LBB19_213:                             ;   in Loop: Header=BB19_53 Depth=2
	s_and_saveexec_b32 s12, s24
	s_cbranch_execz .LBB19_226
; %bb.214:                              ;   in Loop: Header=BB19_53 Depth=2
	s_mov_b32 s28, exec_lo
	s_mov_b32 s27, exec_lo
	v_mbcnt_lo_u32_b32 v0, s28, 0
	global_wb scope:SCOPE_DEV
	s_wait_storecnt 0x0
	s_wait_loadcnt_dscnt 0x0
	global_inv scope:SCOPE_DEV
	v_cmpx_eq_u32_e32 0, v0
	s_cbranch_execz .LBB19_216
; %bb.215:                              ;   in Loop: Header=BB19_53 Depth=2
	s_bcnt1_i32_b32 s28, s28
	s_delay_alu instid0(SALU_CYCLE_1)
	v_dual_mov_b32 v1, v34 :: v_dual_mov_b32 v0, s28
	s_wait_loadcnt 0x0
	ds_add_u64 v0, v[0:1]
	s_trap 2
.LBB19_216:                             ;   in Loop: Header=BB19_53 Depth=2
	s_or_b32 exec_lo, exec_lo, s27
	s_trap 2
	ds_load_b64 v[0:1], v0
	s_wait_dscnt 0x0
	v_add_nc_u64_e32 v[54:55], 4, v[54:55]
	s_mov_b32 s27, exec_lo
	s_delay_alu instid0(VALU_DEP_1)
	v_cmpx_lt_u64_e64 v[0:1], v[54:55]
	s_cbranch_execz .LBB19_225
; %bb.217:                              ;   in Loop: Header=BB19_53 Depth=2
	s_mov_b32 s28, 0
	s_mov_b32 s41, 0
                                        ; implicit-def: $sgpr29
                                        ; implicit-def: $sgpr40
	s_branch .LBB19_219
.LBB19_218:                             ;   in Loop: Header=BB19_219 Depth=3
	s_or_b32 exec_lo, exec_lo, s43
	s_delay_alu instid0(SALU_CYCLE_1) | instskip(NEXT) | instid1(SALU_CYCLE_1)
	s_and_b32 s42, exec_lo, s44
	s_or_b32 s28, s42, s28
	s_and_not1_b32 s29, s29, exec_lo
	s_and_b32 s42, s40, exec_lo
	s_delay_alu instid0(SALU_CYCLE_1)
	s_or_b32 s29, s29, s42
	s_and_not1_b32 exec_lo, exec_lo, s28
	s_cbranch_execz .LBB19_223
.LBB19_219:                             ;   Parent Loop BB19_4 Depth=1
                                        ;     Parent Loop BB19_53 Depth=2
                                        ; =>    This Inner Loop Header: Depth=3
	s_add_co_i32 s41, s41, 1
	s_delay_alu instid0(SALU_CYCLE_1) | instskip(SKIP_1) | instid1(SALU_CYCLE_1)
	s_cmp_lg_u32 s41, 0x2710
	s_cselect_b32 s42, -1, 0
	s_and_b32 vcc_lo, exec_lo, s42
	s_cbranch_vccz .LBB19_221
; %bb.220:                              ;   in Loop: Header=BB19_219 Depth=3
	s_mov_b32 s44, -1
	s_or_b32 s40, s40, exec_lo
	s_and_saveexec_b32 s43, s42
	s_cbranch_execz .LBB19_218
	s_branch .LBB19_222
.LBB19_221:                             ;   in Loop: Header=BB19_219 Depth=3
	s_trap 2
	ds_load_b64 v[0:1], v0
	s_and_not1_b32 s42, s42, exec_lo
	s_mov_b32 s41, 0
	s_wait_loadcnt_dscnt 0x0
	flat_load_b32 v0, v[0:1] scope:SCOPE_SYS
	s_wait_loadcnt_dscnt 0x0
	global_inv scope:SCOPE_SYS
	v_cmp_eq_u32_e32 vcc_lo, 0, v0
	s_and_b32 s43, vcc_lo, exec_lo
	s_delay_alu instid0(SALU_CYCLE_1)
	s_or_b32 s42, s42, s43
	s_mov_b32 s44, -1
	s_or_b32 s40, s40, exec_lo
	s_and_saveexec_b32 s43, s42
	s_cbranch_execz .LBB19_218
.LBB19_222:                             ;   in Loop: Header=BB19_219 Depth=3
	s_sleep 1
	s_trap 2
	ds_load_b64 v[0:1], v0
	s_wait_dscnt 0x0
	s_and_not1_b32 s40, s40, exec_lo
	v_cmp_ge_u64_e32 vcc_lo, v[0:1], v[54:55]
	s_or_not1_b32 s44, vcc_lo, exec_lo
	s_branch .LBB19_218
.LBB19_223:                             ;   in Loop: Header=BB19_53 Depth=2
	s_or_b32 exec_lo, exec_lo, s28
	s_and_saveexec_b32 s28, s29
	s_delay_alu instid0(SALU_CYCLE_1)
	s_xor_b32 s28, exec_lo, s28
	s_cbranch_execz .LBB19_225
; %bb.224:                              ;   in Loop: Header=BB19_53 Depth=2
	ds_store_b32 v0, v112
	s_trap 2
.LBB19_225:                             ;   in Loop: Header=BB19_53 Depth=2
	s_or_b32 exec_lo, exec_lo, s27
	;;#ASMSTART
	s_wakeup
	;;#ASMEND
.LBB19_226:                             ;   in Loop: Header=BB19_53 Depth=2
	s_or_b32 exec_lo, exec_lo, s12
	s_and_not1_saveexec_b32 s9, s9
	s_cbranch_execz .LBB19_199
.LBB19_227:                             ;   in Loop: Header=BB19_53 Depth=2
	global_wb scope:SCOPE_DEV
	s_wait_storecnt 0x0
	s_wait_loadcnt_dscnt 0x0
	global_inv scope:SCOPE_DEV
	s_barrier_signal -1
	s_barrier_wait -1
	s_or_b32 exec_lo, exec_lo, s9
	s_and_saveexec_b32 s9, s11
	s_cbranch_execz .LBB19_200
.LBB19_228:                             ;   in Loop: Header=BB19_53 Depth=2
	ds_load_b64 v[0:1], v44 offset:40
	s_wait_dscnt 0x0
	flat_store_b64 v[0:1], v[70:71] th:TH_STORE_NT
	s_wait_xcnt 0x0
	s_or_b32 exec_lo, exec_lo, s9
	s_and_saveexec_b32 s9, s10
	s_cbranch_execnz .LBB19_201
	s_branch .LBB19_202
.LBB19_229:                             ;   in Loop: Header=BB19_4 Depth=1
	s_or_b32 exec_lo, exec_lo, s25
	v_and_b32_e32 v0, 0x800, v35
	s_delay_alu instid0(VALU_DEP_1)
	v_cmp_eq_u32_e32 vcc_lo, 0, v0
	s_and_b32 exec_lo, exec_lo, vcc_lo
	s_cbranch_execz .LBB19_258
; %bb.230:                              ;   in Loop: Header=BB19_4 Depth=1
	v_and_b32_e32 v0, 48, v35
	s_mov_b32 s7, exec_lo
	s_delay_alu instid0(VALU_DEP_1)
	v_cmpx_ne_u32_e32 0, v0
	s_cbranch_execz .LBB19_232
; %bb.231:                              ;   in Loop: Header=BB19_4 Depth=1
	v_mov_b64_e32 v[0:1], 0x68
	flat_store_b64 v[0:1], v[70:71]
.LBB19_232:                             ;   in Loop: Header=BB19_4 Depth=1
	s_wait_xcnt 0x0
	s_or_b32 exec_lo, exec_lo, s7
	v_and_b32_e32 v0, 0x88, v35
	s_mov_b32 s8, exec_lo
	s_delay_alu instid0(VALU_DEP_1)
	v_cmpx_eq_u32_e32 0x88, v0
	s_cbranch_execz .LBB19_242
; %bb.233:                              ;   in Loop: Header=BB19_4 Depth=1
	v_dual_add_nc_u32 v0, -1, v70 :: v_dual_bitop2_b32 v4, 64, v35 bitop3:0x40
	s_delay_alu instid0(VALU_DEP_1) | instskip(NEXT) | instid1(VALU_DEP_2)
	v_and_b32_e32 v0, 7, v0
	v_cmp_eq_u32_e64 s7, 0, v4
	s_delay_alu instid0(VALU_DEP_2)
	v_mul_hi_u32_u24_e32 v1, 24, v0
	v_mul_u32_u24_e32 v0, 24, v0
	flat_load_b64 v[2:3], v[0:1] offset:8 scope:SCOPE_SYS
	s_wait_loadcnt_dscnt 0x0
	v_cmp_ne_u64_e32 vcc_lo, -1, v[2:3]
	s_and_b32 s7, s7, vcc_lo
	s_wait_xcnt 0x0
	s_and_b32 exec_lo, exec_lo, s7
	s_cbranch_execz .LBB19_242
; %bb.234:                              ;   in Loop: Header=BB19_4 Depth=1
	s_mov_b32 s7, 0
	s_mov_b32 s11, 0
                                        ; implicit-def: $sgpr9
                                        ; implicit-def: $sgpr10
	s_branch .LBB19_236
.LBB19_235:                             ;   in Loop: Header=BB19_236 Depth=2
	s_wait_xcnt 0x0
	s_or_b32 exec_lo, exec_lo, s26
	s_delay_alu instid0(SALU_CYCLE_1) | instskip(NEXT) | instid1(SALU_CYCLE_1)
	s_and_b32 s12, exec_lo, s25
	s_or_b32 s7, s12, s7
	s_and_not1_b32 s9, s9, exec_lo
	s_and_b32 s12, s10, exec_lo
	s_delay_alu instid0(SALU_CYCLE_1)
	s_or_b32 s9, s9, s12
	s_and_not1_b32 exec_lo, exec_lo, s7
	s_cbranch_execz .LBB19_240
.LBB19_236:                             ;   Parent Loop BB19_4 Depth=1
                                        ; =>  This Inner Loop Header: Depth=2
	s_cmp_lt_i32 s11, 0x270f
	s_cselect_b32 s12, -1, 0
	s_delay_alu instid0(SALU_CYCLE_1)
	s_and_b32 vcc_lo, exec_lo, s12
	s_cbranch_vccnz .LBB19_238
; %bb.237:                              ;   in Loop: Header=BB19_236 Depth=2
	s_trap 2
	ds_load_b64 v[2:3], v0
	s_and_not1_b32 s12, s12, exec_lo
	s_mov_b32 s11, 0
	s_wait_storecnt_dscnt 0x0
	flat_load_b32 v2, v[2:3] scope:SCOPE_SYS
	s_wait_loadcnt_dscnt 0x0
	global_inv scope:SCOPE_SYS
	v_cmp_eq_u32_e32 vcc_lo, 0, v2
	s_and_b32 s25, vcc_lo, exec_lo
	s_delay_alu instid0(SALU_CYCLE_1)
	s_or_b32 s12, s12, s25
	s_mov_b32 s25, -1
	s_or_b32 s10, s10, exec_lo
	s_wait_xcnt 0x0
	s_and_saveexec_b32 s26, s12
	s_cbranch_execz .LBB19_235
	s_branch .LBB19_239
.LBB19_238:                             ;   in Loop: Header=BB19_236 Depth=2
	s_add_co_i32 s11, s11, 1
                                        ; implicit-def: $vgpr2
	s_mov_b32 s25, -1
	s_or_b32 s10, s10, exec_lo
	s_and_saveexec_b32 s26, s12
	s_cbranch_execz .LBB19_235
.LBB19_239:                             ;   in Loop: Header=BB19_236 Depth=2
	flat_load_b64 v[4:5], v[0:1] offset:8 scope:SCOPE_SYS
	s_wait_loadcnt 0x0
	s_and_not1_b32 s10, s10, exec_lo
	s_wait_dscnt 0x0
	v_cmp_eq_u64_e32 vcc_lo, -1, v[4:5]
	s_or_not1_b32 s25, vcc_lo, exec_lo
	s_branch .LBB19_235
.LBB19_240:                             ;   in Loop: Header=BB19_4 Depth=1
	s_or_b32 exec_lo, exec_lo, s7
	s_and_saveexec_b32 s7, s9
	s_delay_alu instid0(SALU_CYCLE_1)
	s_xor_b32 s7, exec_lo, s7
	s_cbranch_execz .LBB19_242
; %bb.241:                              ;   in Loop: Header=BB19_4 Depth=1
	s_wait_loadcnt 0x0
	s_wait_storecnt 0x0
	ds_store_b32 v0, v2
	s_trap 2
.LBB19_242:                             ;   in Loop: Header=BB19_4 Depth=1
	s_or_b32 exec_lo, exec_lo, s8
	v_cmp_ne_u32_e32 vcc_lo, 1, v50
	s_and_b32 exec_lo, exec_lo, vcc_lo
	s_cbranch_execz .LBB19_258
; %bb.243:                              ;   in Loop: Header=BB19_4 Depth=1
	s_and_saveexec_b32 s7, s6
	s_delay_alu instid0(SALU_CYCLE_1)
	s_xor_b32 s6, exec_lo, s7
	s_cbranch_execz .LBB19_256
; %bb.244:                              ;   in Loop: Header=BB19_4 Depth=1
	s_and_saveexec_b32 s7, s24
	s_cbranch_execz .LBB19_255
; %bb.245:                              ;   in Loop: Header=BB19_4 Depth=1
	v_mov_b64_e32 v[0:1], 1
	global_wb scope:SCOPE_DEV
	s_wait_storecnt 0x0
	s_wait_loadcnt_dscnt 0x0
	global_inv scope:SCOPE_DEV
	v_ashrrev_i32_e32 v51, 31, v50
	s_mov_b32 s8, exec_lo
	s_wait_loadcnt 0x0
	ds_add_u64 v0, v[0:1] offset:856
	ds_load_b64 v[0:1], v0 offset:856
	s_wait_dscnt 0x0
	v_cmpx_lt_u64_e64 v[0:1], v[50:51]
	s_cbranch_execz .LBB19_254
; %bb.246:                              ;   in Loop: Header=BB19_4 Depth=1
	s_mov_b32 s9, 0
	s_mov_b32 s12, 0
                                        ; implicit-def: $sgpr10
                                        ; implicit-def: $sgpr11
	s_branch .LBB19_248
.LBB19_247:                             ;   in Loop: Header=BB19_248 Depth=2
	s_or_b32 exec_lo, exec_lo, s26
	s_delay_alu instid0(SALU_CYCLE_1) | instskip(NEXT) | instid1(SALU_CYCLE_1)
	s_and_b32 s24, exec_lo, s25
	s_or_b32 s9, s24, s9
	s_and_not1_b32 s10, s10, exec_lo
	s_and_b32 s24, s11, exec_lo
	s_delay_alu instid0(SALU_CYCLE_1)
	s_or_b32 s10, s10, s24
	s_and_not1_b32 exec_lo, exec_lo, s9
	s_cbranch_execz .LBB19_252
.LBB19_248:                             ;   Parent Loop BB19_4 Depth=1
                                        ; =>  This Inner Loop Header: Depth=2
	s_add_co_i32 s12, s12, 1
	s_delay_alu instid0(SALU_CYCLE_1) | instskip(SKIP_1) | instid1(SALU_CYCLE_1)
	s_cmp_lg_u32 s12, 0x2710
	s_cselect_b32 s24, -1, 0
	s_and_b32 vcc_lo, exec_lo, s24
	s_cbranch_vccz .LBB19_250
; %bb.249:                              ;   in Loop: Header=BB19_248 Depth=2
	s_mov_b32 s25, -1
	s_or_b32 s11, s11, exec_lo
	s_and_saveexec_b32 s26, s24
	s_cbranch_execz .LBB19_247
	s_branch .LBB19_251
.LBB19_250:                             ;   in Loop: Header=BB19_248 Depth=2
	s_trap 2
	ds_load_b64 v[0:1], v0
	s_and_not1_b32 s24, s24, exec_lo
	s_mov_b32 s12, 0
	s_wait_dscnt 0x0
	flat_load_b32 v0, v[0:1] scope:SCOPE_SYS
	s_wait_loadcnt_dscnt 0x0
	global_inv scope:SCOPE_SYS
	v_cmp_eq_u32_e32 vcc_lo, 0, v0
	s_and_b32 s25, vcc_lo, exec_lo
	s_delay_alu instid0(SALU_CYCLE_1)
	s_or_b32 s24, s24, s25
	s_mov_b32 s25, -1
	s_or_b32 s11, s11, exec_lo
	s_wait_xcnt 0x0
	s_and_saveexec_b32 s26, s24
	s_cbranch_execz .LBB19_247
.LBB19_251:                             ;   in Loop: Header=BB19_248 Depth=2
	s_sleep 1
	ds_load_b64 v[0:1], v0 offset:856
	s_wait_dscnt 0x0
	s_and_not1_b32 s11, s11, exec_lo
	v_cmp_ge_u64_e32 vcc_lo, v[0:1], v[50:51]
	s_or_not1_b32 s25, vcc_lo, exec_lo
	s_branch .LBB19_247
.LBB19_252:                             ;   in Loop: Header=BB19_4 Depth=1
	s_or_b32 exec_lo, exec_lo, s9
	s_and_saveexec_b32 s9, s10
	s_delay_alu instid0(SALU_CYCLE_1)
	s_xor_b32 s9, exec_lo, s9
	s_cbranch_execz .LBB19_254
; %bb.253:                              ;   in Loop: Header=BB19_4 Depth=1
	ds_store_b32 v0, v112
	s_trap 2
.LBB19_254:                             ;   in Loop: Header=BB19_4 Depth=1
	s_or_b32 exec_lo, exec_lo, s8
	;;#ASMSTART
	s_wakeup
	;;#ASMEND
.LBB19_255:                             ;   in Loop: Header=BB19_4 Depth=1
	s_or_b32 exec_lo, exec_lo, s7
.LBB19_256:                             ;   in Loop: Header=BB19_4 Depth=1
	s_and_not1_saveexec_b32 s6, s6
	s_cbranch_execz .LBB19_258
; %bb.257:                              ;   in Loop: Header=BB19_4 Depth=1
	global_wb scope:SCOPE_DEV
	s_wait_storecnt 0x0
	s_wait_loadcnt_dscnt 0x0
	global_inv scope:SCOPE_DEV
	s_barrier_signal -1
	s_barrier_wait -1
.LBB19_258:                             ;   in Loop: Header=BB19_4 Depth=1
	s_or_b32 exec_lo, exec_lo, s23
                                        ; implicit-def: $vgpr2_vgpr3
                                        ; implicit-def: $vgpr8_vgpr9
                                        ; implicit-def: $vgpr6_vgpr7
                                        ; implicit-def: $vgpr10_vgpr11
                                        ; implicit-def: $vgpr4_vgpr5
.LBB19_259:                             ;   in Loop: Header=BB19_4 Depth=1
	s_and_not1_saveexec_b32 s6, s22
	s_cbranch_execz .LBB19_3
; %bb.260:                              ;   in Loop: Header=BB19_4 Depth=1
	v_sub_nc_u32_e64 v0, s20, 1 clamp
	v_add_nc_u64_e32 v[12:13], v[8:9], v[6:7]
	v_add_nc_u64_e32 v[6:7], v[4:5], v[2:3]
	v_dual_mov_b32 v8, s21 :: v_dual_mov_b32 v9, s20
	s_delay_alu instid0(VALU_DEP_4)
	v_readfirstlane_b32 s6, v0
	v_and_b32_e32 v0, 0x3ffffe00, v10
	v_mov_b64_e32 v[14:15], 0x100000004
	s_mov_b32 s7, 1
	s_clause 0x1
	scratch_store_b128 off, v[4:7], s32 offset:56
	scratch_store_b64 off, v[12:13], s32 offset:72
	s_clz_i32_u32 s6, s6
	s_delay_alu instid0(SALU_CYCLE_1) | instskip(NEXT) | instid1(SALU_CYCLE_1)
	s_sub_co_i32 s6, 32, s6
	s_lshl_b32 s6, 1, s6
	s_cmp_gt_u32 s20, 1
	s_cselect_b32 s11, s6, 1
	s_lshr_b32 s6, s20, 31
	v_dual_mov_b32 v1, v34 :: v_dual_mov_b32 v10, s11
	s_add_co_i32 s20, s20, s6
	s_clause 0x3
	scratch_store_b32 off, v0, s32 offset:80
	scratch_store_b96 off, v[8:10], s32 offset:88
	scratch_store_b32 off, v10, s32 offset:124
	scratch_store_b64 off, v[14:15], s32 offset:108
	s_ashr_i32 s9, s20, 1
	s_branch .LBB19_262
.LBB19_261:                             ;   in Loop: Header=BB19_262 Depth=2
	s_and_not1_b32 vcc_lo, exec_lo, s12
	s_cbranch_vccz .LBB19_266
.LBB19_262:                             ;   Parent Loop BB19_4 Depth=1
                                        ; =>  This Inner Loop Header: Depth=2
	s_mov_b32 s6, s7
	s_ashr_i32 s7, s7, 31
	s_wait_xcnt 0x5
	v_mov_b64_e32 v[6:7], 0
	s_wait_xcnt 0x0
	v_mul_u64_e32 v[4:5], s[6:7], v[2:3]
	s_mov_b32 s8, s11
	s_delay_alu instid0(VALU_DEP_1)
	v_cmp_lt_u64_e32 vcc_lo, v[0:1], v[4:5]
	s_cbranch_vccnz .LBB19_264
; %bb.263:                              ;   in Loop: Header=BB19_262 Depth=2
	v_cvt_f32_u32_e32 v5, v4
	v_sub_nc_u32_e32 v6, 0, v4
	s_delay_alu instid0(VALU_DEP_2) | instskip(SKIP_1) | instid1(TRANS32_DEP_1)
	v_rcp_iflag_f32_e32 v5, v5
	v_nop
	v_mul_f32_e32 v5, 0x4f7ffffe, v5
	s_delay_alu instid0(VALU_DEP_1) | instskip(NEXT) | instid1(VALU_DEP_1)
	v_cvt_u32_f32_e32 v5, v5
	v_mul_lo_u32 v6, v6, v5
	s_delay_alu instid0(VALU_DEP_1) | instskip(NEXT) | instid1(VALU_DEP_1)
	v_mul_hi_u32 v6, v5, v6
	v_add_nc_u32_e32 v5, v5, v6
	s_delay_alu instid0(VALU_DEP_1) | instskip(NEXT) | instid1(VALU_DEP_1)
	v_mul_hi_u32 v5, v0, v5
	v_mul_lo_u32 v6, v5, v4
	s_delay_alu instid0(VALU_DEP_1) | instskip(SKIP_1) | instid1(VALU_DEP_1)
	v_dual_sub_nc_u32 v6, v0, v6 :: v_dual_add_nc_u32 v7, 1, v5
	s_wait_xcnt 0x2
	v_sub_nc_u32_e32 v8, v6, v4
	v_cmp_ge_u32_e32 vcc_lo, v6, v4
	s_delay_alu instid0(VALU_DEP_2) | instskip(NEXT) | instid1(VALU_DEP_1)
	v_dual_cndmask_b32 v6, v6, v8 :: v_dual_cndmask_b32 v5, v5, v7
	v_cmp_ge_u32_e32 vcc_lo, v6, v4
	s_delay_alu instid0(VALU_DEP_2) | instskip(NEXT) | instid1(VALU_DEP_1)
	v_add_nc_u32_e32 v7, 1, v5
	v_dual_cndmask_b32 v6, v5, v7 :: v_dual_mov_b32 v7, v34
.LBB19_264:                             ;   in Loop: Header=BB19_262 Depth=2
	s_delay_alu instid0(VALU_DEP_1)
	v_cmp_gt_u64_e32 vcc_lo, 2, v[6:7]
	s_cmp_lt_i32 s6, s9
	s_mov_b32 s12, -1
	s_cselect_b32 s10, -1, 0
	s_cmp_ge_i32 s6, s9
                                        ; implicit-def: $sgpr11
	s_cselect_b32 s7, -1, 0
	s_delay_alu instid0(SALU_CYCLE_1) | instskip(NEXT) | instid1(SALU_CYCLE_1)
	s_or_b32 s7, s7, vcc_lo
	s_and_b32 vcc_lo, exec_lo, s7
                                        ; implicit-def: $sgpr7
	s_cbranch_vccnz .LBB19_261
; %bb.265:                              ;   in Loop: Header=BB19_262 Depth=2
	s_lshr_b32 s7, s8, 31
	s_mov_b32 s12, 0
	s_add_co_i32 s11, s8, s7
	s_lshl_b32 s7, s6, 1
	s_ashr_i32 s11, s11, 1
	s_delay_alu instid0(SALU_CYCLE_1)
	v_dual_mov_b32 v4, s7 :: v_dual_mov_b32 v5, s11
	s_clause 0x1
	scratch_store_b32 off, v4, s32 offset:112
	scratch_store_b32 off, v5, s32 offset:124
	s_branch .LBB19_261
.LBB19_266:                             ;   in Loop: Header=BB19_4 Depth=1
	s_wait_xcnt 0x1
	v_mov_b32_e32 v4, s6
	s_cmp_gt_i32 s6, 3
	s_mov_b32 s7, 4
	scratch_store_b32 off, v4, s32 offset:100
	s_cbranch_scc1 .LBB19_268
; %bb.267:                              ;   in Loop: Header=BB19_4 Depth=1
	s_wait_xcnt 0x0
	v_mov_b32_e32 v4, s6
	s_mov_b32 s7, s6
	scratch_store_b32 off, v4, s32 offset:108
.LBB19_268:                             ;   in Loop: Header=BB19_4 Depth=1
	s_and_not1_b32 vcc_lo, exec_lo, s10
	s_cbranch_vccnz .LBB19_273
; %bb.269:                              ;   in Loop: Header=BB19_4 Depth=1
	s_lshr_b32 s10, s8, 31
	s_delay_alu instid0(SALU_CYCLE_1)
	s_add_co_i32 s11, s8, s10
	s_lshl_b32 s10, s6, 1
	s_ashr_i32 s11, s11, 1
	s_wait_xcnt 0x0
	v_dual_mov_b32 v4, s10 :: v_dual_mov_b32 v5, s11
	s_cmp_ge_i32 s10, s9
	s_clause 0x1
	scratch_store_b32 off, v4, s32 offset:112
	scratch_store_b32 off, v5, s32 offset:124
	s_cbranch_scc1 .LBB19_272
; %bb.270:                              ;   in Loop: Header=BB19_4 Depth=1
	s_ashr_i32 s12, s8, 31
	s_delay_alu instid0(SALU_CYCLE_1) | instskip(NEXT) | instid1(SALU_CYCLE_1)
	s_lshr_b32 s10, s12, 30
	s_add_co_i32 s11, s8, s10
	s_lshl_b32 s10, s6, 2
	s_ashr_i32 s11, s11, 2
	s_wait_xcnt 0x0
	v_dual_mov_b32 v4, s10 :: v_dual_mov_b32 v5, s11
	s_cmp_ge_i32 s10, s9
	s_clause 0x1
	scratch_store_b32 off, v4, s32 offset:112
	scratch_store_b32 off, v5, s32 offset:124
	s_cbranch_scc1 .LBB19_272
; %bb.271:                              ;   in Loop: Header=BB19_4 Depth=1
	s_lshr_b32 s9, s12, 29
	s_lshl_b32 s10, s6, 3
	s_add_co_i32 s8, s8, s9
	s_delay_alu instid0(SALU_CYCLE_1)
	s_ashr_i32 s11, s8, 3
	s_wait_xcnt 0x0
	v_dual_mov_b32 v4, s10 :: v_dual_mov_b32 v5, s11
	s_clause 0x1
	scratch_store_b32 off, v4, s32 offset:112
	scratch_store_b32 off, v5, s32 offset:124
.LBB19_272:                             ;   in Loop: Header=BB19_4 Depth=1
	s_mov_b32 s6, s10
	s_mov_b32 s8, s11
.LBB19_273:                             ;   in Loop: Header=BB19_4 Depth=1
	s_wait_xcnt 0x0
	v_sub_nc_u32_e64 v4, s8, 1 clamp
	v_min_i64 v[6:7], v[0:1], v[2:3]
	v_mov_b32_e32 v0, 0
	s_delay_alu instid0(VALU_DEP_3) | instskip(SKIP_1) | instid1(SALU_CYCLE_1)
	v_readfirstlane_b32 s9, v4
	s_clz_i32_u32 s20, s9
	s_sub_co_i32 s11, 32, s20
	s_cmp_lt_u32 s8, 2
	s_cselect_b32 s8, -1, 0
	s_delay_alu instid0(SALU_CYCLE_1)
	s_and_b32 vcc_lo, s8, exec_lo
	s_cselect_b32 s9, 0, s11
	s_lshr_b32 s8, s6, 31
	s_add_co_i32 s10, s6, -2
	s_add_co_i32 s8, s6, s8
	v_dual_mov_b32 v5, v34 :: v_dual_mov_b32 v4, s9
	s_ashr_i32 s8, s8, 1
	s_cmp_lt_u32 s10, -3
	s_cselect_b32 s10, -1, 0
	s_delay_alu instid0(SALU_CYCLE_1) | instskip(SKIP_1) | instid1(SALU_CYCLE_1)
	s_and_b32 s12, s10, exec_lo
	s_cselect_b32 s12, 2, 1
	v_dual_mov_b32 v2, s8 :: v_dual_mov_b32 v3, s12
	s_mov_b32 s12, 0
	s_clause 0x1
	scratch_store_b32 off, v6, s32 offset:84
	scratch_store_b128 off, v[2:5], s32 offset:128
	s_cbranch_vccnz .LBB19_289
; %bb.274:                              ;   in Loop: Header=BB19_4 Depth=1
	s_cmp_eq_u32 s20, 31
	s_mov_b32 s20, -1
	s_cbranch_scc1 .LBB19_278
; %bb.275:                              ;   in Loop: Header=BB19_4 Depth=1
	s_and_b32 s12, s11, 62
	s_mov_b32 s20, s11
	s_mov_b32 s21, 1
	;; [unrolled: 1-line block ×5, first 2 shown]
.LBB19_276:                             ;   Parent Loop BB19_4 Depth=1
                                        ; =>  This Inner Loop Header: Depth=2
	s_sub_co_i32 s25, s20, s21
	s_sub_co_i32 s26, s11, s22
	s_delay_alu instid0(SALU_CYCLE_1)
	v_dual_mov_b32 v1, s25 :: v_dual_mov_b32 v0, s26
	s_add_co_i32 s23, s23, -2
	s_add_co_i32 s22, s22, 2
	s_add_co_i32 s21, s21, 2
	s_clause 0x1
	scratch_store_b64 off, v[0:1], s24 offset:-128
	scratch_store_b64 off, v[38:39], s24
	s_wait_xcnt 0x0
	s_add_co_i32 s24, s24, 8
	s_cmp_lg_u32 s23, 0
	s_cbranch_scc1 .LBB19_276
; %bb.277:                              ;   in Loop: Header=BB19_4 Depth=1
	s_cmp_lg_u32 s11, s12
	s_cselect_b32 s20, -1, 0
.LBB19_278:                             ;   in Loop: Header=BB19_4 Depth=1
	s_delay_alu instid0(SALU_CYCLE_1)
	s_and_b32 vcc_lo, exec_lo, s20
	s_cbranch_vccz .LBB19_281
; %bb.279:                              ;   in Loop: Header=BB19_4 Depth=1
	s_lshl_b32 s20, s12, 2
	s_sub_co_i32 s11, s11, s12
	s_add_co_i32 s20, s17, s20
.LBB19_280:                             ;   Parent Loop BB19_4 Depth=1
                                        ; =>  This Inner Loop Header: Depth=2
	v_mov_b32_e32 v0, s11
	s_add_co_i32 s11, s11, -1
	s_clause 0x1
	scratch_store_b32 off, v0, s20 offset:-128
	scratch_store_b32 off, v112, s20
	s_wait_xcnt 0x0
	s_add_co_i32 s20, s20, 4
	s_cmp_eq_u32 s11, 0
	s_cbranch_scc0 .LBB19_280
.LBB19_281:                             ;   in Loop: Header=BB19_4 Depth=1
	v_mov_b32_e32 v0, 0
	s_mov_b32 s11, 0
	s_mov_b32 s12, s17
	s_branch .LBB19_285
.LBB19_282:                             ;   in Loop: Header=BB19_285 Depth=2
	s_wait_xcnt 0x0
	s_or_b32 exec_lo, exec_lo, s23
	v_add_nc_u32_e32 v0, 1, v2
	scratch_store_b32 off, v0, s12
.LBB19_283:                             ;   in Loop: Header=BB19_285 Depth=2
	s_wait_xcnt 0x0
	s_or_b32 exec_lo, exec_lo, s21
	v_mov_b32_e32 v0, v1
.LBB19_284:                             ;   in Loop: Header=BB19_285 Depth=2
	s_or_b32 exec_lo, exec_lo, s20
	s_add_co_i32 s11, s11, 1
	s_add_co_i32 s12, s12, 4
	s_cmp_lg_u32 s9, s11
	s_cbranch_scc0 .LBB19_289
.LBB19_285:                             ;   Parent Loop BB19_4 Depth=1
                                        ; =>  This Inner Loop Header: Depth=2
	scratch_load_b32 v1, off, s12 offset:-128
	s_mov_b32 s20, exec_lo
	s_wait_loadcnt 0x0
	v_add_nc_u32_e32 v1, -1, v1
	scratch_store_b32 off, v1, s12 offset:-128
	s_wait_xcnt 0x0
	v_cmpx_eq_u32_e32 0, v1
	s_cbranch_execz .LBB19_284
; %bb.286:                              ;   in Loop: Header=BB19_285 Depth=2
	s_lshl_b32 s22, 1, s11
	s_mov_b32 s21, exec_lo
	v_dual_mov_b32 v3, s22 :: v_dual_bitop2_b32 v2, s22, v0 bitop3:0x40
	v_xor_b32_e32 v1, s22, v0
	scratch_store_b32 off, v1, s32 offset:140
	scratch_store_b32 off, v3, s12 offset:-128
	s_wait_xcnt 0x0
	v_cmpx_ne_u32_e32 0, v2
	s_cbranch_execz .LBB19_283
; %bb.287:                              ;   in Loop: Header=BB19_285 Depth=2
	scratch_load_b32 v2, off, s12
	s_mov_b32 s23, exec_lo
	s_wait_loadcnt 0x0
	v_ctz_i32_b32_e32 v3, v2
	v_cmp_eq_u32_e32 vcc_lo, 0, v2
	s_delay_alu instid0(VALU_DEP_2) | instskip(NEXT) | instid1(VALU_DEP_1)
	v_cndmask_b32_e64 v3, v3, s9, vcc_lo
	v_add3_u32 v3, s22, -1, v3
	scratch_store_b32 off, v3, s12 offset:-128
	s_wait_xcnt 0x0
	v_cmpx_eq_u32_e32 0, v3
	s_cbranch_execz .LBB19_282
; %bb.288:                              ;   in Loop: Header=BB19_285 Depth=2
	v_dual_mov_b32 v3, s22 :: v_dual_mov_b32 v1, v0
	scratch_store_b32 off, v0, s32 offset:140
	scratch_store_b32 off, v3, s12 offset:-128
	s_branch .LBB19_282
.LBB19_289:                             ;   in Loop: Header=BB19_4 Depth=1
	v_mov_b32_e32 v1, v34
	s_and_not1_b32 vcc_lo, exec_lo, s10
	scratch_store_b64 off, v[0:1], s32 offset:116
	s_cbranch_vccnz .LBB19_291
; %bb.290:                              ;   in Loop: Header=BB19_4 Depth=1
	s_lshl_b32 s9, s8, 1
	s_ashr_i32 s8, s8, 31
	s_abs_i32 s12, s6
	s_add_co_i32 s9, s9, s8
	s_ashr_i32 s6, s6, 31
	s_xor_b32 s9, s9, s8
	s_xor_b32 s6, s6, s8
	s_cvt_f32_u32 s10, s9
	s_sub_co_i32 s11, 0, s9
	s_wait_xcnt 0x0
	s_delay_alu instid0(SALU_CYCLE_1) | instskip(SKIP_1) | instid1(TRANS32_DEP_1)
	v_rcp_iflag_f32_e32 v0, s10
	v_nop
	v_readfirstlane_b32 s10, v0
	s_mul_f32 s10, s10, 0x4f7ffffe
	s_delay_alu instid0(SALU_CYCLE_3) | instskip(NEXT) | instid1(SALU_CYCLE_3)
	s_cvt_u32_f32 s10, s10
	s_mul_i32 s11, s11, s10
	s_delay_alu instid0(SALU_CYCLE_1) | instskip(NEXT) | instid1(SALU_CYCLE_1)
	s_mul_hi_u32 s11, s10, s11
	s_add_co_i32 s10, s10, s11
	s_delay_alu instid0(SALU_CYCLE_1) | instskip(NEXT) | instid1(SALU_CYCLE_1)
	s_mul_hi_u32 s10, s12, s10
	s_mul_i32 s11, s10, s9
	s_delay_alu instid0(SALU_CYCLE_1)
	s_sub_co_i32 s8, s12, s11
	s_add_co_i32 s11, s10, 1
	s_sub_co_i32 s12, s8, s9
	s_cmp_ge_u32 s8, s9
	s_cselect_b32 s10, s11, s10
	s_cselect_b32 s8, s12, s8
	s_add_co_i32 s11, s10, 1
	s_cmp_ge_u32 s8, s9
	s_cselect_b32 s8, s11, s10
	s_delay_alu instid0(SALU_CYCLE_1) | instskip(NEXT) | instid1(SALU_CYCLE_1)
	s_xor_b32 s8, s8, s6
	s_sub_co_i32 s6, s8, s6
.LBB19_291:                             ;   in Loop: Header=BB19_4 Depth=1
	s_wait_xcnt 0x0
	v_dual_mov_b32 v0, s6 :: v_dual_mov_b32 v1, s7
	s_mov_b32 s10, 0
	s_mov_b32 s11, 0
	scratch_store_b32 off, v0, s32 offset:104
	ds_store_b32 v0, v1
	s_trap 2
	s_branch .LBB19_294
.LBB19_292:                             ;   in Loop: Header=BB19_294 Depth=2
	s_or_b32 exec_lo, exec_lo, s6
	s_delay_alu instid0(SALU_CYCLE_1)
	s_and_not1_b32 s12, s12, exec_lo
.LBB19_293:                             ;   in Loop: Header=BB19_294 Depth=2
	s_or_b32 exec_lo, exec_lo, s8
	v_cndmask_b32_e64 v0, 1, 3, s7
	s_add_co_i32 s11, s11, 1
	s_and_b32 s6, exec_lo, s12
	s_delay_alu instid0(SALU_CYCLE_1)
	s_or_b32 s10, s6, s10
	ds_store_b32 v0, v0 offset:36
	s_and_not1_b32 exec_lo, exec_lo, s10
	s_cbranch_execz .LBB19_2
.LBB19_294:                             ;   Parent Loop BB19_4 Depth=1
                                        ; =>  This Loop Header: Depth=2
                                        ;       Child Loop BB19_295 Depth 3
                                        ;       Child Loop BB19_354 Depth 3
	;; [unrolled: 1-line block ×5, first 2 shown]
	s_trap 2
.LBB19_295:                             ;   Parent Loop BB19_4 Depth=1
                                        ;     Parent Loop BB19_294 Depth=2
                                        ; =>    This Inner Loop Header: Depth=3
	s_wait_xcnt 0x0
	ds_load_b32 v0, v0 offset:36
	s_wait_dscnt 0x0
	v_cmp_ne_u32_e32 vcc_lo, 0, v0
	s_cbranch_vccnz .LBB19_295
; %bb.296:                              ;   in Loop: Header=BB19_294 Depth=2
	s_clause 0x4
	scratch_load_b32 v11, off, s32 offset:120
	scratch_load_b32 v10, off, s32 offset:132
	scratch_load_b32 v12, off, s32 offset:104
	scratch_load_b32 v13, off, s32 offset:84
	scratch_load_b64 v[4:5], off, s32 offset:56
	s_mov_b32 s7, -1
	s_mov_b32 s12, exec_lo
	s_wait_loadcnt 0x1
	ds_store_2addr_b32 v0, v13, v34 offset0:7 offset1:8
	s_wait_loadcnt 0x0
	ds_store_b64 v0, v[4:5] offset:40
	s_wait_xcnt 0x0
	v_cmpx_lt_i32_e64 v11, v12
	s_cbranch_execz .LBB19_332
; %bb.297:                              ;   in Loop: Header=BB19_294 Depth=2
                                        ; implicit-def: $sgpr21
	s_mov_b32 s6, exec_lo
	v_cmpx_lt_i32_e32 0, v10
	s_xor_b32 s20, exec_lo, s6
	s_cbranch_execz .LBB19_325
; %bb.298:                              ;   in Loop: Header=BB19_294 Depth=2
                                        ; implicit-def: $sgpr21
	s_mov_b32 s6, exec_lo
	v_cmpx_lt_i32_e32 1, v10
	s_xor_b32 s7, exec_lo, s6
	s_cbranch_execz .LBB19_310
; %bb.299:                              ;   in Loop: Header=BB19_294 Depth=2
	s_mov_b32 s21, 0
	s_mov_b32 s8, exec_lo
	v_cmpx_eq_u32_e32 2, v10
	s_cbranch_execz .LBB19_309
; %bb.300:                              ;   in Loop: Header=BB19_294 Depth=2
	s_clause 0x1
	scratch_load_b32 v6, off, s32 offset:100
	scratch_load_b64 v[2:3], off, s32 offset:124
	s_mov_b32 s6, exec_lo
                                        ; implicit-def: $vgpr16
                                        ; implicit-def: $vgpr17
	s_wait_loadcnt 0x1
	v_dual_ashrrev_i32 v15, 31, v11 :: v_dual_sub_nc_u32 v0, 0, v6
	s_delay_alu instid0(VALU_DEP_1) | instskip(NEXT) | instid1(VALU_DEP_1)
	v_max_i32_e32 v7, v6, v0
	v_cvt_f32_u32_e32 v0, v7
	s_delay_alu instid0(VALU_DEP_1) | instskip(SKIP_1) | instid1(TRANS32_DEP_1)
	v_rcp_iflag_f32_e32 v0, v0
	v_nop
	v_dual_mul_f32 v0, 0x4f7ffffe, v0 :: v_dual_sub_nc_u32 v1, 0, v7
	s_delay_alu instid0(VALU_DEP_1) | instskip(NEXT) | instid1(VALU_DEP_1)
	v_cvt_u32_f32_e32 v0, v0
	v_mul_lo_u32 v1, v1, v0
	s_delay_alu instid0(VALU_DEP_1) | instskip(NEXT) | instid1(VALU_DEP_1)
	v_mul_hi_u32 v1, v0, v1
	v_dual_sub_nc_u32 v8, 0, v11 :: v_dual_add_nc_u32 v0, v0, v1
	s_delay_alu instid0(VALU_DEP_1) | instskip(NEXT) | instid1(VALU_DEP_1)
	v_max_i32_e32 v8, v11, v8
	v_mul_hi_u32 v1, v8, v0
	s_delay_alu instid0(VALU_DEP_1) | instskip(NEXT) | instid1(VALU_DEP_1)
	v_mul_lo_u32 v9, v1, v7
	v_sub_nc_u32_e32 v9, v8, v9
	v_add_nc_u32_e32 v8, 1, v1
	s_delay_alu instid0(VALU_DEP_2) | instskip(NEXT) | instid1(VALU_DEP_2)
	v_cmp_ge_u32_e32 vcc_lo, v9, v7
	v_cndmask_b32_e32 v1, v1, v8, vcc_lo
	v_dual_sub_nc_u32 v14, v9, v7 :: v_dual_ashrrev_i32 v8, 31, v6
	s_delay_alu instid0(VALU_DEP_1) | instskip(NEXT) | instid1(VALU_DEP_2)
	v_dual_cndmask_b32 v9, v9, v14 :: v_dual_add_nc_u32 v14, 1, v1
	v_xor_b32_e32 v15, v15, v8
	s_delay_alu instid0(VALU_DEP_2) | instskip(SKIP_3) | instid1(VALU_DEP_1)
	v_cmp_ge_u32_e32 vcc_lo, v9, v7
	s_wait_loadcnt 0x0
	v_mul_lo_u32 v9, v2, v3
	v_cndmask_b32_e32 v1, v1, v14, vcc_lo
	v_xor_b32_e32 v1, v1, v15
	s_delay_alu instid0(VALU_DEP_1) | instskip(SKIP_1) | instid1(VALU_DEP_1)
	v_sub_nc_u32_e32 v14, v1, v15
	v_lshlrev_b32_e32 v1, 1, v11
	v_or_b32_e32 v2, 1, v1
	s_delay_alu instid0(VALU_DEP_3) | instskip(NEXT) | instid1(VALU_DEP_2)
	v_mul_lo_u32 v3, v14, v6
	v_mul_lo_u32 v2, v9, v2
	s_delay_alu instid0(VALU_DEP_2) | instskip(SKIP_1) | instid1(VALU_DEP_1)
	v_dual_sub_nc_u32 v15, v11, v3 :: v_dual_add_nc_u32 v3, -1, v6
	s_wait_xcnt 0x0
	v_cmpx_ne_u32_e64 v15, v3
	s_xor_b32 s6, exec_lo, s6
	s_cbranch_execz .LBB19_302
; %bb.301:                              ;   in Loop: Header=BB19_294 Depth=2
	scratch_load_b32 v17, off, s32 offset:92
	v_lshl_add_u32 v3, v9, 1, v2
	s_wait_loadcnt 0x0
	s_delay_alu instid0(VALU_DEP_1)
	v_cmp_ge_i32_e32 vcc_lo, v3, v17
	v_cndmask_b32_e64 v16, 0, 1, vcc_lo
.LBB19_302:                             ;   in Loop: Header=BB19_294 Depth=2
	s_wait_xcnt 0x0
	s_and_not1_saveexec_b32 s6, s6
	s_cbranch_execz .LBB19_304
; %bb.303:                              ;   in Loop: Header=BB19_294 Depth=2
	scratch_load_b32 v17, off, s32 offset:92
	v_mov_b32_e32 v16, 1
.LBB19_304:                             ;   in Loop: Header=BB19_294 Depth=2
	s_wait_xcnt 0x0
	s_or_b32 exec_lo, exec_lo, s6
	s_clause 0x2
	scratch_load_b32 v3, off, s32 offset:96
	scratch_load_b32 v20, off, s32 offset:88
	scratch_load_b64 v[18:19], off, s32 offset:72
	s_wait_loadcnt 0x3
	v_sub_nc_u32_e32 v21, 0, v17
	v_ctz_i32_b32_e32 v24, v2
	v_cmp_eq_u32_e32 vcc_lo, 0, v9
	v_mul_lo_u32 v15, v15, v13
	s_mov_b32 s9, exec_lo
	s_wait_loadcnt 0x2
	v_dual_cndmask_b32 v3, v24, v3, vcc_lo :: v_dual_max_i32 v21, v17, v21
	s_delay_alu instid0(VALU_DEP_1) | instskip(NEXT) | instid1(VALU_DEP_2)
	v_cvt_f32_u32_e32 v22, v21
	v_lshl_add_u32 v24, -1, v3, v2
	s_delay_alu instid0(VALU_DEP_2) | instskip(SKIP_1) | instid1(VALU_DEP_1)
	v_rcp_iflag_f32_e32 v22, v22
	s_wait_loadcnt 0x1
	v_add3_u32 v20, v24, v17, v20
	s_delay_alu instid0(TRANS32_DEP_1) | instskip(NEXT) | instid1(VALU_DEP_2)
	v_dual_mul_f32 v22, 0x4f7ffffe, v22 :: v_dual_sub_nc_u32 v23, 0, v21
	v_sub_nc_u32_e32 v25, 0, v20
	s_delay_alu instid0(VALU_DEP_2) | instskip(NEXT) | instid1(VALU_DEP_1)
	v_cvt_u32_f32_e32 v22, v22
	v_mul_lo_u32 v23, v23, v22
	s_delay_alu instid0(VALU_DEP_1) | instskip(NEXT) | instid1(VALU_DEP_4)
	v_mul_hi_u32 v23, v22, v23
	v_dual_ashrrev_i32 v20, 31, v20 :: v_dual_max_i32 v25, v20, v25
	s_delay_alu instid0(VALU_DEP_2) | instskip(NEXT) | instid1(VALU_DEP_1)
	v_add_nc_u32_e32 v22, v22, v23
	v_mul_hi_u32 v22, v25, v22
	s_delay_alu instid0(VALU_DEP_1) | instskip(NEXT) | instid1(VALU_DEP_1)
	v_mul_lo_u32 v22, v22, v21
	v_sub_nc_u32_e32 v22, v25, v22
	s_delay_alu instid0(VALU_DEP_1) | instskip(SKIP_1) | instid1(VALU_DEP_2)
	v_sub_nc_u32_e32 v23, v22, v21
	v_cmp_ge_u32_e32 vcc_lo, v22, v21
	v_cndmask_b32_e32 v22, v22, v23, vcc_lo
	s_delay_alu instid0(VALU_DEP_1) | instskip(SKIP_1) | instid1(VALU_DEP_2)
	v_sub_nc_u32_e32 v23, v22, v21
	v_cmp_ge_u32_e32 vcc_lo, v22, v21
	v_cndmask_b32_e32 v21, v22, v23, vcc_lo
	v_cmp_ge_i32_e32 vcc_lo, v2, v17
	v_ctz_i32_b32_e32 v2, v24
	s_delay_alu instid0(VALU_DEP_3) | instskip(NEXT) | instid1(VALU_DEP_1)
	v_xor_b32_e32 v21, v21, v20
	v_sub_nc_u32_e32 v22, v21, v20
	s_wait_loadcnt 0x0
	s_delay_alu instid0(VALU_DEP_1) | instskip(NEXT) | instid1(VALU_DEP_1)
	v_mad_nc_u64_u32 v[20:21], v18, v22, v[4:5]
	v_mad_u32 v19, v19, v22, v21
	v_ashrrev_i32_e32 v21, 31, v22
	s_delay_alu instid0(VALU_DEP_1)
	v_mad_u32 v21, v18, v21, v19
	ds_store_2addr_b32 v0, v34, v16 offset0:5 offset1:6
	ds_store_2addr_b32 v0, v15, v14 offset0:3 offset1:4
	ds_store_2addr_b64 v0, v[2:3], v[20:21] offset1:6
	s_wait_xcnt 0x0
	v_cmpx_ne_u32_e32 0, v24
	s_xor_b32 s9, exec_lo, s9
	s_cbranch_execz .LBB19_306
; %bb.305:                              ;   in Loop: Header=BB19_294 Depth=2
	v_mul_lo_u32 v1, v9, v1
	v_dual_mov_b32 v3, v34 :: v_dual_add_nc_u32 v2, 1, v2
	s_delay_alu instid0(VALU_DEP_1) | instskip(NEXT) | instid1(VALU_DEP_1)
	v_ashrrev_i32_e32 v9, v2, v1
	v_dual_mov_b32 v1, v34 :: v_dual_sub_nc_u32 v2, 0, v9
	s_delay_alu instid0(VALU_DEP_1) | instskip(NEXT) | instid1(VALU_DEP_1)
	v_max_i32_e32 v2, v9, v2
	v_mul_u64_e32 v[0:1], v[2:3], v[0:1]
	s_delay_alu instid0(VALU_DEP_1) | instskip(NEXT) | instid1(VALU_DEP_1)
	v_mul_lo_u32 v0, v1, v7
	v_sub_nc_u32_e32 v0, v2, v0
	s_delay_alu instid0(VALU_DEP_1) | instskip(SKIP_1) | instid1(VALU_DEP_1)
	v_sub_nc_u32_e32 v3, v0, v7
	v_cmp_ge_u32_e64 s6, v0, v7
	v_dual_add_nc_u32 v2, 1, v1 :: v_dual_cndmask_b32 v0, v0, v3, s6
	s_delay_alu instid0(VALU_DEP_1) | instskip(NEXT) | instid1(VALU_DEP_2)
	v_dual_cndmask_b32 v1, v1, v2, s6 :: v_dual_ashrrev_i32 v2, 31, v9
	v_cmp_ge_u32_e64 s6, v0, v7
	s_delay_alu instid0(VALU_DEP_2) | instskip(NEXT) | instid1(VALU_DEP_1)
	v_dual_add_nc_u32 v3, 1, v1 :: v_dual_bitop2_b32 v2, v2, v8 bitop3:0x14
	v_cndmask_b32_e64 v0, v1, v3, s6
	s_delay_alu instid0(VALU_DEP_1) | instskip(NEXT) | instid1(VALU_DEP_1)
	v_xor_b32_e32 v0, v0, v2
	v_sub_nc_u32_e32 v0, v0, v2
	s_delay_alu instid0(VALU_DEP_1) | instskip(NEXT) | instid1(VALU_DEP_1)
	v_mul_lo_u32 v1, v0, v6
	v_sub_nc_u32_e32 v1, v9, v1
	s_delay_alu instid0(VALU_DEP_1)
	v_mul_lo_u32 v1, v1, v13
	ds_store_2addr_b32 v0, v1, v0 offset0:2 offset1:4
.LBB19_306:                             ;   in Loop: Header=BB19_294 Depth=2
	s_and_not1_saveexec_b32 s6, s9
; %bb.307:                              ;   in Loop: Header=BB19_294 Depth=2
	ds_store_b32 v0, v113 offset:8
; %bb.308:                              ;   in Loop: Header=BB19_294 Depth=2
	s_or_b32 exec_lo, exec_lo, s6
	s_delay_alu instid0(SALU_CYCLE_1)
	s_and_b32 s21, vcc_lo, exec_lo
.LBB19_309:                             ;   in Loop: Header=BB19_294 Depth=2
	s_or_b32 exec_lo, exec_lo, s8
                                        ; implicit-def: $vgpr13
.LBB19_310:                             ;   in Loop: Header=BB19_294 Depth=2
	s_and_not1_saveexec_b32 s22, s7
	s_cbranch_execz .LBB19_324
; %bb.311:                              ;   in Loop: Header=BB19_294 Depth=2
	s_clause 0x3
	scratch_load_b128 v[0:3], off, s32 offset:88
	scratch_load_b32 v6, off, s32 offset:124
	scratch_load_b32 v9, off, s32 offset:116
	scratch_load_b64 v[20:21], off, s32 offset:72
	s_wait_loadcnt 0x3
	v_dual_sub_nc_u32 v25, 0, v11 :: v_dual_sub_nc_u32 v7, 0, v1
	v_sub_nc_u32_e32 v8, 0, v3
	s_wait_loadcnt 0x2
	v_mul_lo_u32 v17, v6, v11
	s_delay_alu instid0(VALU_DEP_3) | instskip(NEXT) | instid1(VALU_DEP_3)
	v_max_i32_e32 v19, v1, v7
	v_max_i32_e32 v16, v3, v8
	s_delay_alu instid0(VALU_DEP_2) | instskip(SKIP_1) | instid1(VALU_DEP_4)
	v_cvt_f32_u32_e32 v7, v19
	s_wait_loadcnt 0x1
	v_add_nc_u32_e32 v14, v17, v9
	s_delay_alu instid0(VALU_DEP_3) | instskip(NEXT) | instid1(VALU_DEP_3)
	v_cvt_f32_u32_e32 v8, v16
	v_rcp_iflag_f32_e32 v7, v7
	s_delay_alu instid0(VALU_DEP_2) | instskip(SKIP_1) | instid1(VALU_DEP_3)
	v_ctz_i32_b32_e32 v15, v14
	v_cmp_eq_u32_e32 vcc_lo, 0, v14
	v_rcp_iflag_f32_e32 v8, v8
	v_add_nc_u32_e32 v6, v14, v6
	s_delay_alu instid0(TRANS32_DEP_2) | instskip(SKIP_2) | instid1(VALU_DEP_4)
	v_mul_f32_e32 v18, 0x4f7ffffe, v7
	v_dual_cndmask_b32 v7, v15, v2 :: v_dual_sub_nc_u32 v22, 0, v19
	v_sub_nc_u32_e32 v15, 0, v16
	v_cmp_ge_i32_e64 s7, v6, v1
	s_delay_alu instid0(VALU_DEP_4) | instskip(NEXT) | instid1(VALU_DEP_4)
	v_cvt_u32_f32_e32 v2, v18
	v_lshlrev_b32_e64 v18, v7, -1
	v_mul_f32_e32 v8, 0x4f7ffffe, v8
	v_cmp_ne_u32_e64 s6, 0, v7
	s_delay_alu instid0(VALU_DEP_4) | instskip(NEXT) | instid1(VALU_DEP_3)
	v_mul_lo_u32 v22, v22, v2
	v_cvt_u32_f32_e32 v8, v8
	s_delay_alu instid0(VALU_DEP_1) | instskip(SKIP_1) | instid1(VALU_DEP_4)
	v_mul_lo_u32 v23, v15, v8
	v_add_nc_u32_e32 v15, v18, v14
	v_mul_hi_u32 v22, v2, v22
	s_delay_alu instid0(VALU_DEP_2) | instskip(NEXT) | instid1(VALU_DEP_4)
	v_add3_u32 v0, v0, v1, v15
	v_mul_hi_u32 v23, v8, v23
	s_delay_alu instid0(VALU_DEP_2) | instskip(NEXT) | instid1(VALU_DEP_2)
	v_dual_sub_nc_u32 v24, 0, v0 :: v_dual_add_nc_u32 v2, v2, v22
	v_dual_add_nc_u32 v8, v8, v23 :: v_dual_max_i32 v22, v11, v25
	s_delay_alu instid0(VALU_DEP_1) | instskip(NEXT) | instid1(VALU_DEP_1)
	v_mul_hi_u32 v23, v22, v8
	v_mul_lo_u32 v25, v23, v16
	s_delay_alu instid0(VALU_DEP_4) | instskip(NEXT) | instid1(VALU_DEP_2)
	v_max_i32_e32 v24, v0, v24
	v_dual_ashrrev_i32 v0, 31, v0 :: v_dual_sub_nc_u32 v22, v22, v25
	s_delay_alu instid0(VALU_DEP_2) | instskip(NEXT) | instid1(VALU_DEP_2)
	v_mul_hi_u32 v2, v24, v2
	v_dual_ashrrev_i32 v25, 31, v11 :: v_dual_sub_nc_u32 v28, v22, v16
	s_delay_alu instid0(VALU_DEP_2) | instskip(NEXT) | instid1(VALU_DEP_1)
	v_mul_lo_u32 v2, v2, v19
	v_sub_nc_u32_e32 v24, v24, v2
	s_delay_alu instid0(VALU_DEP_1) | instskip(SKIP_1) | instid1(VALU_DEP_2)
	v_sub_nc_u32_e32 v26, v24, v19
	v_cmp_ge_u32_e32 vcc_lo, v24, v19
	v_dual_ashrrev_i32 v2, 31, v3 :: v_dual_cndmask_b32 v24, v24, v26, vcc_lo
	s_delay_alu instid0(VALU_DEP_1) | instskip(SKIP_1) | instid1(VALU_DEP_3)
	v_dual_add_nc_u32 v27, 1, v23 :: v_dual_bitop2_b32 v25, v25, v2 bitop3:0x14
	v_cmp_ge_u32_e32 vcc_lo, v22, v16
	v_sub_nc_u32_e32 v26, v24, v19
	s_delay_alu instid0(VALU_DEP_3) | instskip(SKIP_1) | instid1(VALU_DEP_2)
	v_dual_cndmask_b32 v23, v23, v27 :: v_dual_cndmask_b32 v22, v22, v28
	v_cmp_ge_u32_e32 vcc_lo, v24, v19
	v_dual_add_nc_u32 v27, 1, v23 :: v_dual_cndmask_b32 v19, v24, v26, vcc_lo
	s_delay_alu instid0(VALU_DEP_3) | instskip(NEXT) | instid1(VALU_DEP_2)
	v_cmp_ge_u32_e32 vcc_lo, v22, v16
	v_cndmask_b32_e32 v22, v23, v27, vcc_lo
	v_cmp_gt_i32_e32 vcc_lo, v6, v1
	s_delay_alu instid0(VALU_DEP_2) | instskip(SKIP_3) | instid1(VALU_DEP_3)
	v_xor_b32_e32 v22, v22, v25
	v_xor_b32_e32 v19, v19, v0
	v_cndmask_b32_e64 v27, 0, 1, vcc_lo
	v_cmp_eq_u32_e32 vcc_lo, 0, v7
	v_dual_sub_nc_u32 v25, v22, v25 :: v_dual_sub_nc_u32 v19, v19, v0
	s_delay_alu instid0(VALU_DEP_1) | instskip(SKIP_1) | instid1(VALU_DEP_2)
	v_mul_lo_u32 v24, v25, v3
	s_wait_loadcnt 0x0
	v_mad_nc_u64_u32 v[22:23], v20, v19, v[4:5]
	s_delay_alu instid0(VALU_DEP_2) | instskip(NEXT) | instid1(VALU_DEP_2)
	v_dual_add_nc_u32 v0, -1, v3 :: v_dual_sub_nc_u32 v26, v11, v24
	v_mad_u32 v21, v21, v19, v23
	s_delay_alu instid0(VALU_DEP_2) | instskip(SKIP_1) | instid1(VALU_DEP_4)
	v_mul_lo_u32 v24, v26, v13
	v_ashrrev_i32_e32 v6, 31, v19
	v_cmp_ne_u32_e64 s8, v26, v0
	v_cndmask_b32_e64 v19, 0, 1, vcc_lo
	v_cmp_eq_u32_e64 s9, v26, v0
	s_delay_alu instid0(VALU_DEP_4)
	v_mad_u32 v23, v20, v6, v21
	s_and_b32 s8, vcc_lo, s8
	s_or_b32 s7, s9, s7
	v_cndmask_b32_e64 v19, v19, v27, s8
	v_ctz_i32_b32_e32 v6, v15
	v_cndmask_b32_e64 v26, 0, 1, s7
	v_cndmask_b32_e64 v20, v25, 0, vcc_lo
	s_delay_alu instid0(VALU_DEP_4)
	v_dual_mov_b32 v25, v24 :: v_dual_bitop2_b32 v21, 1, v19 bitop3:0x40
	s_mov_b32 s8, exec_lo
	ds_store_b64 v0, v[22:23] offset:48
	ds_store_b32 v0, v26 offset:24
	ds_store_2addr_b64 v0, v[6:7], v[24:25] offset1:1
	ds_store_b64 v0, v[20:21] offset:16
	s_wait_xcnt 0x0
	v_cmpx_ne_u32_e32 0, v15
	s_xor_b32 s8, exec_lo, s8
	s_cbranch_execz .LBB19_319
; %bb.312:                              ;   in Loop: Header=BB19_294 Depth=2
	v_sub_nc_u32_e32 v7, 0, v9
	s_mov_b32 s9, exec_lo
	s_delay_alu instid0(VALU_DEP_1)
	v_cmpx_eq_u32_e64 v18, v7
	s_cbranch_execz .LBB19_318
; %bb.313:                              ;   in Loop: Header=BB19_294 Depth=2
	v_dual_add_nc_u32 v7, 1, v6 :: v_dual_mov_b32 v9, v34
	s_delay_alu instid0(VALU_DEP_1) | instskip(NEXT) | instid1(VALU_DEP_1)
	v_dual_mov_b32 v19, v34 :: v_dual_ashrrev_i32 v7, v7, v17
	v_sub_nc_u32_e32 v17, 0, v7
	s_delay_alu instid0(VALU_DEP_1) | instskip(NEXT) | instid1(VALU_DEP_1)
	v_max_i32_e32 v18, v7, v17
	v_mul_u64_e32 v[8:9], v[18:19], v[8:9]
	s_delay_alu instid0(VALU_DEP_1) | instskip(NEXT) | instid1(VALU_DEP_1)
	v_mul_lo_u32 v8, v9, v16
	v_dual_sub_nc_u32 v8, v18, v8 :: v_dual_add_nc_u32 v17, 1, v9
	s_delay_alu instid0(VALU_DEP_1) | instskip(SKIP_1) | instid1(VALU_DEP_1)
	v_sub_nc_u32_e32 v18, v8, v16
	v_cmp_ge_u32_e64 s7, v8, v16
	v_dual_cndmask_b32 v9, v9, v17, s7 :: v_dual_ashrrev_i32 v17, 31, v7
	s_delay_alu instid0(VALU_DEP_1) | instskip(NEXT) | instid1(VALU_DEP_2)
	v_dual_cndmask_b32 v8, v8, v18, s7 :: v_dual_add_nc_u32 v18, 1, v9
	v_xor_b32_e32 v2, v17, v2
	s_delay_alu instid0(VALU_DEP_2) | instskip(NEXT) | instid1(VALU_DEP_1)
	v_cmp_ge_u32_e64 s7, v8, v16
	v_cndmask_b32_e64 v8, v9, v18, s7
	s_delay_alu instid0(VALU_DEP_1) | instskip(NEXT) | instid1(VALU_DEP_1)
	v_xor_b32_e32 v8, v8, v2
	v_sub_nc_u32_e32 v2, v8, v2
	s_delay_alu instid0(VALU_DEP_1) | instskip(NEXT) | instid1(VALU_DEP_1)
	v_mul_lo_u32 v3, v2, v3
	v_sub_nc_u32_e32 v8, v7, v3
	s_delay_alu instid0(VALU_DEP_1) | instskip(SKIP_2) | instid1(SALU_CYCLE_1)
	v_mul_lo_u32 v3, v8, v13
	ds_store_b32 v0, v3 offset:8
	s_and_saveexec_b32 s7, s6
	s_xor_b32 s6, exec_lo, s7
; %bb.314:                              ;   in Loop: Header=BB19_294 Depth=2
                                        ; implicit-def: $vgpr8
                                        ; implicit-def: $vgpr0
                                        ; implicit-def: $vgpr7
                                        ; implicit-def: $vgpr6
; %bb.315:                              ;   in Loop: Header=BB19_294 Depth=2
	s_delay_alu instid0(SALU_CYCLE_1)
	s_or_saveexec_b32 s23, s6
	v_mov_b32_e32 v3, 0
	s_xor_b32 exec_lo, exec_lo, s23
; %bb.316:                              ;   in Loop: Header=BB19_294 Depth=2
	v_lshlrev_b32_e32 v2, 1, v7
	v_cmp_eq_u32_e64 s6, v8, v0
	s_delay_alu instid0(VALU_DEP_2) | instskip(NEXT) | instid1(VALU_DEP_1)
	v_add_lshl_u32 v2, v2, 3, v6
	v_cmp_ge_i32_e64 s7, v2, v1
	v_mov_b32_e32 v2, 0
	s_or_b32 s6, s6, s7
	s_delay_alu instid0(SALU_CYCLE_1)
	v_cndmask_b32_e64 v3, 0, 1, s6
; %bb.317:                              ;   in Loop: Header=BB19_294 Depth=2
	s_or_b32 exec_lo, exec_lo, s23
	ds_store_b64 v0, v[2:3] offset:16
.LBB19_318:                             ;   in Loop: Header=BB19_294 Depth=2
	s_or_b32 exec_lo, exec_lo, s9
.LBB19_319:                             ;   in Loop: Header=BB19_294 Depth=2
	s_and_not1_saveexec_b32 s6, s8
; %bb.320:                              ;   in Loop: Header=BB19_294 Depth=2
	ds_store_2addr_b32 v0, v113, v34 offset0:2 offset1:5
; %bb.321:                              ;   in Loop: Header=BB19_294 Depth=2
	s_or_b32 exec_lo, exec_lo, s6
	v_cmp_ge_i32_e64 s7, v14, v1
	v_cmp_lt_i32_e64 s6, v15, v1
	s_and_b32 s6, s7, s6
	s_delay_alu instid0(SALU_CYCLE_1) | instskip(NEXT) | instid1(SALU_CYCLE_1)
	s_and_b32 s8, vcc_lo, s6
	s_and_saveexec_b32 s6, s8
	s_cbranch_execz .LBB19_323
; %bb.322:                              ;   in Loop: Header=BB19_294 Depth=2
	s_and_not1_b32 s7, s7, exec_lo
	ds_store_2addr_b32 v0, v113, v113 offset0:1 offset1:3
	ds_store_b32 v0, v34 offset:24
.LBB19_323:                             ;   in Loop: Header=BB19_294 Depth=2
	s_or_b32 exec_lo, exec_lo, s6
	s_delay_alu instid0(SALU_CYCLE_1) | instskip(SKIP_1) | instid1(SALU_CYCLE_1)
	s_and_not1_b32 s6, s21, exec_lo
	s_and_b32 s7, s7, exec_lo
	s_or_b32 s21, s6, s7
.LBB19_324:                             ;   in Loop: Header=BB19_294 Depth=2
	s_or_b32 exec_lo, exec_lo, s22
                                        ; implicit-def: $vgpr13
.LBB19_325:                             ;   in Loop: Header=BB19_294 Depth=2
	s_and_not1_saveexec_b32 s6, s20
	s_cbranch_execz .LBB19_331
; %bb.326:                              ;   in Loop: Header=BB19_294 Depth=2
	s_mov_b32 s8, 0
	s_mov_b32 s7, exec_lo
	v_cmpx_eq_u32_e32 0, v10
	s_cbranch_execz .LBB19_330
; %bb.327:                              ;   in Loop: Header=BB19_294 Depth=2
	s_clause 0x4
	scratch_load_b64 v[0:1], off, s32 offset:88
	scratch_load_b32 v14, off, s32 offset:100
	scratch_load_b32 v2, off, s32 offset:124
	scratch_load_b32 v3, off, s32 offset:116
	scratch_load_b64 v[6:7], off, s32 offset:72
	s_mov_b32 s8, exec_lo
	s_wait_loadcnt 0x4
	v_dual_mov_b32 v35, v34 :: v_dual_sub_nc_u32 v8, 0, v1
	s_wait_loadcnt 0x3
	v_sub_nc_u32_e32 v15, 0, v14
	s_wait_loadcnt 0x1
	v_mad_u32 v3, v2, v11, v3
	v_max_i32_e32 v8, v1, v8
	s_delay_alu instid0(VALU_DEP_3) | instskip(NEXT) | instid1(VALU_DEP_2)
	v_max_i32_e32 v15, v14, v15
	v_cvt_f32_u32_e32 v9, v8
	s_delay_alu instid0(VALU_DEP_2) | instskip(SKIP_1) | instid1(VALU_DEP_3)
	v_cvt_f32_u32_e32 v17, v15
	v_sub_nc_u32_e32 v19, 0, v15
	v_rcp_iflag_f32_e32 v9, v9
	s_delay_alu instid0(VALU_DEP_2) | instskip(NEXT) | instid1(TRANS32_DEP_2)
	v_rcp_iflag_f32_e32 v17, v17
	v_dual_mul_f32 v9, 0x4f7ffffe, v9 :: v_dual_add_nc_u32 v0, v0, v3
	s_delay_alu instid0(TRANS32_DEP_1) | instskip(NEXT) | instid1(VALU_DEP_2)
	v_dual_mul_f32 v17, 0x4f7ffffe, v17 :: v_dual_sub_nc_u32 v16, 0, v8
	v_sub_nc_u32_e32 v18, 0, v0
	s_delay_alu instid0(VALU_DEP_3) | instskip(NEXT) | instid1(VALU_DEP_3)
	v_cvt_u32_f32_e32 v9, v9
	v_cvt_u32_f32_e32 v17, v17
	s_delay_alu instid0(VALU_DEP_2) | instskip(NEXT) | instid1(VALU_DEP_1)
	v_mul_lo_u32 v16, v16, v9
	v_mul_hi_u32 v16, v9, v16
	v_dual_ashrrev_i32 v0, 31, v0 :: v_dual_max_i32 v18, v0, v18
	s_delay_alu instid0(VALU_DEP_2) | instskip(SKIP_1) | instid1(VALU_DEP_2)
	v_add_nc_u32_e32 v9, v9, v16
	v_mul_lo_u32 v16, v19, v17
	v_mul_hi_u32 v9, v18, v9
	s_delay_alu instid0(VALU_DEP_2) | instskip(SKIP_1) | instid1(VALU_DEP_3)
	v_mul_hi_u32 v16, v17, v16
	v_sub_nc_u32_e32 v19, 0, v11
	v_mul_lo_u32 v9, v9, v8
	s_delay_alu instid0(VALU_DEP_2) | instskip(NEXT) | instid1(VALU_DEP_2)
	v_dual_add_nc_u32 v16, v17, v16 :: v_dual_max_i32 v19, v11, v19
	v_dual_sub_nc_u32 v9, v18, v9 :: v_dual_ashrrev_i32 v18, 31, v11
	s_delay_alu instid0(VALU_DEP_2) | instskip(NEXT) | instid1(VALU_DEP_2)
	v_mul_hi_u32 v16, v19, v16
	v_sub_nc_u32_e32 v17, v9, v8
	v_cmp_ge_u32_e32 vcc_lo, v9, v8
	s_delay_alu instid0(VALU_DEP_2) | instskip(NEXT) | instid1(VALU_DEP_4)
	v_cndmask_b32_e32 v9, v9, v17, vcc_lo
	v_mul_lo_u32 v16, v16, v15
	s_delay_alu instid0(VALU_DEP_2) | instskip(SKIP_1) | instid1(VALU_DEP_2)
	v_sub_nc_u32_e32 v17, v9, v8
	v_cmp_ge_u32_e32 vcc_lo, v9, v8
	v_dual_cndmask_b32 v8, v9, v17 :: v_dual_sub_nc_u32 v9, v19, v16
	s_delay_alu instid0(VALU_DEP_1) | instskip(SKIP_1) | instid1(VALU_DEP_2)
	v_dual_sub_nc_u32 v16, v9, v15 :: v_dual_bitop2_b32 v8, v8, v0 bitop3:0x14
	v_cmp_ge_u32_e32 vcc_lo, v9, v15
	v_cndmask_b32_e32 v16, v9, v16, vcc_lo
	s_delay_alu instid0(VALU_DEP_1) | instskip(SKIP_1) | instid1(VALU_DEP_2)
	v_sub_nc_u32_e32 v17, v16, v15
	v_cmp_ge_u32_e32 vcc_lo, v16, v15
	v_cndmask_b32_e32 v15, v16, v17, vcc_lo
	v_sub_nc_u32_e32 v0, v8, v0
	s_wait_loadcnt 0x0
	s_delay_alu instid0(VALU_DEP_1) | instskip(NEXT) | instid1(VALU_DEP_1)
	v_mad_nc_u64_u32 v[8:9], v6, v0, v[4:5]
	v_mad_u32 v7, v7, v0, v9
	v_dual_ashrrev_i32 v0, 31, v0 :: v_dual_bitop2_b32 v9, v15, v18 bitop3:0x14
	s_delay_alu instid0(VALU_DEP_1) | instskip(NEXT) | instid1(VALU_DEP_2)
	v_sub_nc_u32_e32 v15, v9, v18
	v_mad_u32 v9, v6, v0, v7
	s_delay_alu instid0(VALU_DEP_2)
	v_mul_lo_u32 v6, v15, v13
	v_dual_mov_b32 v0, 1 :: v_dual_add_nc_u32 v7, -1, v14
	ds_store_2addr_b64 v0, v[34:35], v[8:9] offset0:5 offset1:6
	ds_store_b64 v0, v[48:49]
	ds_store_b32 v0, v6 offset:8
	ds_store_2addr_b32 v0, v113, v34 offset0:3 offset1:4
	s_wait_xcnt 0x0
	v_cmpx_ne_u32_e64 v15, v7
; %bb.328:                              ;   in Loop: Header=BB19_294 Depth=2
	v_add_nc_u32_e32 v0, v3, v2
	s_delay_alu instid0(VALU_DEP_1)
	v_cmp_ge_i32_e32 vcc_lo, v0, v1
	v_cndmask_b32_e64 v0, 0, 1, vcc_lo
; %bb.329:                              ;   in Loop: Header=BB19_294 Depth=2
	s_or_b32 exec_lo, exec_lo, s8
	v_cmp_ge_i32_e32 vcc_lo, v3, v1
	ds_store_2addr_b32 v0, v0, v34 offset0:5 offset1:6
	s_and_b32 s8, vcc_lo, exec_lo
.LBB19_330:                             ;   in Loop: Header=BB19_294 Depth=2
	s_or_b32 exec_lo, exec_lo, s7
	s_delay_alu instid0(SALU_CYCLE_1) | instskip(SKIP_1) | instid1(SALU_CYCLE_1)
	s_and_not1_b32 s7, s21, exec_lo
	s_and_b32 s8, s8, exec_lo
	s_or_b32 s21, s7, s8
.LBB19_331:                             ;   in Loop: Header=BB19_294 Depth=2
	s_or_b32 exec_lo, exec_lo, s6
	s_delay_alu instid0(SALU_CYCLE_1)
	s_or_not1_b32 s7, s21, exec_lo
.LBB19_332:                             ;   in Loop: Header=BB19_294 Depth=2
	s_or_b32 exec_lo, exec_lo, s12
	scratch_load_b32 v0, off, s32 offset:108
	v_add_nc_u32_e32 v1, 1, v11
                                        ; implicit-def: $sgpr12
	s_mov_b32 s6, exec_lo
	s_wait_loadcnt 0x0
	v_max_i32_e32 v2, v12, v0
	scratch_store_b32 off, v1, s32 offset:120
	s_wait_xcnt 0x0
	v_cmpx_le_i32_e64 v2, v1
	s_xor_b32 s8, exec_lo, s6
	s_cbranch_execz .LBB19_389
; %bb.333:                              ;   in Loop: Header=BB19_294 Depth=2
	s_mov_b32 s6, exec_lo
                                        ; implicit-def: $vgpr2
	v_cmpx_lt_i32_e32 1, v10
	s_xor_b32 s6, exec_lo, s6
	s_cbranch_execz .LBB19_337
; %bb.334:                              ;   in Loop: Header=BB19_294 Depth=2
	v_mov_b32_e32 v2, 1
	s_mov_b32 s9, exec_lo
	v_cmpx_eq_u32_e32 2, v10
	s_cbranch_execz .LBB19_336
; %bb.335:                              ;   in Loop: Header=BB19_294 Depth=2
	scratch_load_b32 v0, off, s32 offset:128
	s_wait_loadcnt 0x0
	v_lshrrev_b32_e32 v1, 31, v0
	s_delay_alu instid0(VALU_DEP_1) | instskip(NEXT) | instid1(VALU_DEP_1)
	v_dual_add_nc_u32 v1, v0, v1 :: v_dual_add_nc_u32 v0, 1, v0
	v_ashrrev_i32_e32 v1, 1, v1
	s_delay_alu instid0(VALU_DEP_2)
	v_cmp_gt_u32_e32 vcc_lo, 3, v0
	scratch_store_b32 off, v1, s32 offset:128
	v_cndmask_b32_e64 v2, 2, 1, vcc_lo
.LBB19_336:                             ;   in Loop: Header=BB19_294 Depth=2
	s_wait_xcnt 0x0
	s_or_b32 exec_lo, exec_lo, s9
.LBB19_337:                             ;   in Loop: Header=BB19_294 Depth=2
	s_and_not1_saveexec_b32 s6, s6
	s_cbranch_execz .LBB19_341
; %bb.338:                              ;   in Loop: Header=BB19_294 Depth=2
	v_mov_b32_e32 v2, 1
	s_mov_b32 s9, exec_lo
	v_cmpx_eq_u32_e32 1, v10
	s_cbranch_execz .LBB19_340
; %bb.339:                              ;   in Loop: Header=BB19_294 Depth=2
	scratch_load_b32 v0, off, s32 offset:116
	s_wait_loadcnt 0x0
	v_and_b32_e32 v0, 0x80000001, v0
	s_delay_alu instid0(VALU_DEP_1)
	v_cmp_ne_u32_e32 vcc_lo, 1, v0
	v_cndmask_b32_e64 v2, 0, 1, vcc_lo
.LBB19_340:                             ;   in Loop: Header=BB19_294 Depth=2
	s_wait_xcnt 0x0
	s_or_b32 exec_lo, exec_lo, s9
.LBB19_341:                             ;   in Loop: Header=BB19_294 Depth=2
	s_delay_alu instid0(SALU_CYCLE_1)
	s_or_b32 exec_lo, exec_lo, s6
	v_cmp_ne_u32_e64 s9, 0, v10
	s_mov_b32 s6, -1
	v_cmp_eq_u32_e32 vcc_lo, 0, v10
	scratch_store_b32 off, v2, s32 offset:132
	s_wait_xcnt 0x0
	s_and_saveexec_b32 s12, s9
	s_cbranch_execnz .LBB19_346
; %bb.342:                              ;   in Loop: Header=BB19_294 Depth=2
	s_or_b32 exec_lo, exec_lo, s12
	s_and_saveexec_b32 s12, s6
	s_cbranch_execnz .LBB19_349
.LBB19_343:                             ;   in Loop: Header=BB19_294 Depth=2
	s_or_b32 exec_lo, exec_lo, s12
	s_mov_b32 s6, 0
	s_and_saveexec_b32 s12, vcc_lo
	s_cbranch_execnz .LBB19_360
.LBB19_344:                             ;   in Loop: Header=BB19_294 Depth=2
	s_or_b32 exec_lo, exec_lo, s12
	s_and_saveexec_b32 s12, s9
	s_delay_alu instid0(SALU_CYCLE_1)
	s_xor_b32 s9, exec_lo, s12
	s_cbranch_execnz .LBB19_361
.LBB19_345:                             ;   in Loop: Header=BB19_294 Depth=2
	s_or_b32 exec_lo, exec_lo, s9
	s_mov_b32 s12, 0
	s_and_saveexec_b32 s9, s6
	s_cbranch_execnz .LBB19_364
	s_branch .LBB19_388
.LBB19_346:                             ;   in Loop: Header=BB19_294 Depth=2
	s_mov_b32 s21, 0
	s_mov_b32 s20, exec_lo
	v_cmpx_eq_u32_e32 1, v10
	s_cbranch_execz .LBB19_348
; %bb.347:                              ;   in Loop: Header=BB19_294 Depth=2
	scratch_load_b32 v0, off, s32 offset:116
	s_wait_loadcnt 0x0
	v_and_b32_e32 v0, 1, v0
	s_delay_alu instid0(VALU_DEP_1)
	v_cmp_eq_u32_e64 s6, 0, v0
	s_and_b32 s21, s6, exec_lo
.LBB19_348:                             ;   in Loop: Header=BB19_294 Depth=2
	s_wait_xcnt 0x0
	s_or_b32 exec_lo, exec_lo, s20
	s_delay_alu instid0(SALU_CYCLE_1)
	s_or_not1_b32 s6, s21, exec_lo
	s_or_b32 exec_lo, exec_lo, s12
	s_and_saveexec_b32 s12, s6
	s_cbranch_execz .LBB19_343
.LBB19_349:                             ;   in Loop: Header=BB19_294 Depth=2
	scratch_load_b64 v[0:1], off, s32 offset:136
	s_mov_b32 s20, exec_lo
	s_wait_loadcnt 0x0
	v_cmpx_lt_i32_e32 0, v0
	s_cbranch_execz .LBB19_359
; %bb.350:                              ;   in Loop: Header=BB19_294 Depth=2
	s_mov_b32 s21, 0
	s_mov_b32 s22, s17
	s_mov_b32 s23, 0
	s_branch .LBB19_354
.LBB19_351:                             ;   in Loop: Header=BB19_354 Depth=3
	s_wait_xcnt 0x0
	s_or_b32 exec_lo, exec_lo, s27
	v_add_nc_u32_e32 v1, 1, v6
	scratch_store_b32 off, v1, s22
.LBB19_352:                             ;   in Loop: Header=BB19_354 Depth=3
	s_wait_xcnt 0x0
	s_or_b32 exec_lo, exec_lo, s25
	v_mov_b32_e32 v1, v3
.LBB19_353:                             ;   in Loop: Header=BB19_354 Depth=3
	s_or_b32 exec_lo, exec_lo, s24
	s_add_co_i32 s23, s23, 1
	s_add_co_i32 s22, s22, 4
	v_cmp_eq_u32_e64 s6, s23, v0
	s_or_b32 s21, s6, s21
	s_delay_alu instid0(SALU_CYCLE_1)
	s_and_not1_b32 exec_lo, exec_lo, s21
	s_cbranch_execz .LBB19_358
.LBB19_354:                             ;   Parent Loop BB19_4 Depth=1
                                        ;     Parent Loop BB19_294 Depth=2
                                        ; =>    This Inner Loop Header: Depth=3
	scratch_load_b32 v3, off, s22 offset:-128
	s_mov_b32 s24, exec_lo
	s_wait_loadcnt 0x0
	v_add_nc_u32_e32 v3, -1, v3
	scratch_store_b32 off, v3, s22 offset:-128
	s_wait_xcnt 0x0
	v_cmpx_eq_u32_e32 0, v3
	s_cbranch_execz .LBB19_353
; %bb.355:                              ;   in Loop: Header=BB19_354 Depth=3
	s_lshl_b32 s26, 1, s23
	s_mov_b32 s25, exec_lo
	v_dual_mov_b32 v7, s26 :: v_dual_bitop2_b32 v6, s26, v1 bitop3:0x40
	v_xor_b32_e32 v3, s26, v1
	scratch_store_b32 off, v3, s32 offset:140
	scratch_store_b32 off, v7, s22 offset:-128
	s_wait_xcnt 0x0
	v_cmpx_ne_u32_e32 0, v6
	s_cbranch_execz .LBB19_352
; %bb.356:                              ;   in Loop: Header=BB19_354 Depth=3
	scratch_load_b32 v6, off, s22
	s_mov_b32 s27, exec_lo
	s_wait_loadcnt 0x0
	v_ctz_i32_b32_e32 v7, v6
	v_cmp_eq_u32_e64 s6, 0, v6
	s_delay_alu instid0(VALU_DEP_1) | instskip(NEXT) | instid1(VALU_DEP_1)
	v_cndmask_b32_e64 v7, v7, v0, s6
	v_add3_u32 v7, s26, -1, v7
	scratch_store_b32 off, v7, s22 offset:-128
	s_wait_xcnt 0x0
	v_cmpx_eq_u32_e32 0, v7
	s_cbranch_execz .LBB19_351
; %bb.357:                              ;   in Loop: Header=BB19_354 Depth=3
	v_dual_mov_b32 v7, s26 :: v_dual_mov_b32 v3, v1
	scratch_store_b32 off, v1, s32 offset:140
	scratch_store_b32 off, v7, s22 offset:-128
	s_branch .LBB19_351
.LBB19_358:                             ;   in Loop: Header=BB19_294 Depth=2
	s_or_b32 exec_lo, exec_lo, s21
.LBB19_359:                             ;   in Loop: Header=BB19_294 Depth=2
	s_delay_alu instid0(SALU_CYCLE_1)
	s_or_b32 exec_lo, exec_lo, s20
	scratch_store_b32 off, v1, s32 offset:116
	s_wait_xcnt 0x0
	s_or_b32 exec_lo, exec_lo, s12
	s_mov_b32 s6, 0
	s_and_saveexec_b32 s12, vcc_lo
	s_cbranch_execz .LBB19_344
.LBB19_360:                             ;   in Loop: Header=BB19_294 Depth=2
	s_clause 0x1
	scratch_load_b32 v0, off, s32 offset:124
	scratch_load_b32 v1, off, s32 offset:116
	s_and_not1_b32 s9, s9, exec_lo
	s_mov_b32 s6, exec_lo
	s_wait_loadcnt 0x1
	v_lshrrev_b32_e32 v3, 31, v0
	s_delay_alu instid0(VALU_DEP_1) | instskip(NEXT) | instid1(VALU_DEP_1)
	v_add_nc_u32_e32 v0, v0, v3
	v_ashrrev_i32_e32 v0, 1, v0
	s_wait_loadcnt 0x0
	s_delay_alu instid0(VALU_DEP_1) | instskip(SKIP_1) | instid1(SALU_CYCLE_1)
	v_cmp_ne_u32_e32 vcc_lo, v1, v0
	s_and_b32 s20, vcc_lo, exec_lo
	s_or_b32 s9, s9, s20
	s_wait_xcnt 0x0
	s_or_b32 exec_lo, exec_lo, s12
	s_and_saveexec_b32 s12, s9
	s_delay_alu instid0(SALU_CYCLE_1)
	s_xor_b32 s9, exec_lo, s12
	s_cbranch_execz .LBB19_345
.LBB19_361:                             ;   in Loop: Header=BB19_294 Depth=2
	scratch_load_b32 v0, off, s32 offset:112
	s_mov_b32 s12, exec_lo
	scratch_store_b32 off, v34, s32 offset:120
	s_wait_loadcnt 0x0
	scratch_store_b32 off, v0, s32 offset:104
	s_wait_xcnt 0x0
	v_cmpx_lt_u32_e32 1, v2
	s_cbranch_execz .LBB19_363
; %bb.362:                              ;   in Loop: Header=BB19_294 Depth=2
	scratch_load_b32 v1, off, s32 offset:128
	s_wait_loadcnt 0x0
	v_dual_sub_nc_u32 v7, 0, v0 :: v_dual_lshlrev_b32 v1, 1, v1
	s_delay_alu instid0(VALU_DEP_1) | instskip(NEXT) | instid1(VALU_DEP_1)
	v_sub_nc_u32_e32 v2, 0, v1
	v_max_i32_e32 v2, v1, v2
	s_delay_alu instid0(VALU_DEP_1) | instskip(SKIP_1) | instid1(VALU_DEP_2)
	v_cvt_f32_u32_e32 v3, v2
	v_sub_nc_u32_e32 v6, 0, v2
	v_rcp_iflag_f32_e32 v3, v3
	v_nop
	s_delay_alu instid0(TRANS32_DEP_1) | instskip(NEXT) | instid1(VALU_DEP_1)
	v_mul_f32_e32 v3, 0x4f7ffffe, v3
	v_cvt_u32_f32_e32 v3, v3
	s_delay_alu instid0(VALU_DEP_1) | instskip(NEXT) | instid1(VALU_DEP_1)
	v_mul_lo_u32 v6, v6, v3
	v_mul_hi_u32 v6, v3, v6
	s_delay_alu instid0(VALU_DEP_1) | instskip(NEXT) | instid1(VALU_DEP_1)
	v_dual_add_nc_u32 v3, v3, v6 :: v_dual_max_i32 v7, v0, v7
	v_mul_hi_u32 v3, v7, v3
	s_delay_alu instid0(VALU_DEP_1) | instskip(NEXT) | instid1(VALU_DEP_1)
	v_mul_lo_u32 v6, v3, v2
	v_dual_sub_nc_u32 v6, v7, v6 :: v_dual_add_nc_u32 v7, 1, v3
	s_delay_alu instid0(VALU_DEP_1) | instskip(NEXT) | instid1(VALU_DEP_2)
	v_cmp_ge_u32_e32 vcc_lo, v6, v2
	v_dual_cndmask_b32 v3, v3, v7 :: v_dual_sub_nc_u32 v8, v6, v2
	s_delay_alu instid0(VALU_DEP_1) | instskip(NEXT) | instid1(VALU_DEP_1)
	v_dual_cndmask_b32 v1, v6, v8, vcc_lo :: v_dual_bitop2_b32 v0, v0, v1 bitop3:0x14
	v_dual_add_nc_u32 v6, 1, v3 :: v_dual_ashrrev_i32 v0, 31, v0
	s_delay_alu instid0(VALU_DEP_2) | instskip(NEXT) | instid1(VALU_DEP_2)
	v_cmp_ge_u32_e32 vcc_lo, v1, v2
	v_cndmask_b32_e32 v1, v3, v6, vcc_lo
	s_delay_alu instid0(VALU_DEP_1) | instskip(NEXT) | instid1(VALU_DEP_1)
	v_xor_b32_e32 v1, v1, v0
	v_sub_nc_u32_e32 v0, v1, v0
	scratch_store_b32 off, v0, s32 offset:104
.LBB19_363:                             ;   in Loop: Header=BB19_294 Depth=2
	s_wait_xcnt 0x0
	s_or_b32 exec_lo, exec_lo, s12
	s_delay_alu instid0(SALU_CYCLE_1)
	s_and_not1_b32 s6, s6, exec_lo
	s_or_b32 exec_lo, exec_lo, s9
	s_mov_b32 s12, 0
	s_and_saveexec_b32 s9, s6
	s_cbranch_execz .LBB19_388
.LBB19_364:                             ;   in Loop: Header=BB19_294 Depth=2
	s_clause 0x1
	scratch_load_b32 v0, off, s32 offset:80
	scratch_load_b64 v[6:7], off, s32 offset:64
	s_mov_b32 s6, exec_lo
	s_wait_loadcnt 0x1
	v_ashrrev_i32_e32 v1, 31, v0
	s_delay_alu instid0(VALU_DEP_1)
	v_add_nc_u64_e32 v[4:5], v[4:5], v[0:1]
	scratch_store_b64 off, v[4:5], s32 offset:56
	s_wait_loadcnt 0x0
	v_cmpx_le_u64_e64 v[6:7], v[4:5]
	s_xor_b32 s6, exec_lo, s6
; %bb.365:                              ;   in Loop: Header=BB19_294 Depth=2
	v_mov_b32_e32 v0, 2
                                        ; implicit-def: $vgpr6_vgpr7
                                        ; implicit-def: $vgpr4_vgpr5
	ds_store_b32 v0, v0 offset:32
                                        ; implicit-def: $vgpr0_vgpr1
; %bb.366:                              ;   in Loop: Header=BB19_294 Depth=2
	s_or_saveexec_b32 s12, s6
	s_mov_b32 s6, -1
	s_xor_b32 exec_lo, exec_lo, s12
	s_cbranch_execz .LBB19_387
; %bb.367:                              ;   in Loop: Header=BB19_294 Depth=2
	s_clause 0x1
	scratch_load_b32 v3, off, s32 offset:112
	scratch_load_b32 v2, off, s32 offset:136
	v_sub_nc_u64_e32 v[4:5], v[6:7], v[4:5]
	s_mov_b32 s20, exec_lo
	s_delay_alu instid0(VALU_DEP_1) | instskip(SKIP_2) | instid1(VALU_DEP_1)
	v_min_i64 v[6:7], v[0:1], v[4:5]
	s_wait_loadcnt 0x1
	v_dual_mov_b32 v4, 0 :: v_dual_lshrrev_b32 v0, 31, v3
	v_dual_add_nc_u32 v1, -2, v3 :: v_dual_add_nc_u32 v0, v3, v0
	s_delay_alu instid0(VALU_DEP_1) | instskip(NEXT) | instid1(VALU_DEP_2)
	v_cmp_gt_u32_e32 vcc_lo, -3, v1
	v_ashrrev_i32_e32 v0, 1, v0
	v_cndmask_b32_e64 v1, 1, 2, vcc_lo
	s_clause 0x2
	scratch_store_b32 off, v6, s32 offset:84
	scratch_store_b64 off, v[0:1], s32 offset:128
	scratch_store_b32 off, v4, s32 offset:140
	s_wait_loadcnt 0x0
	v_cmpx_lt_i32_e32 0, v2
	s_cbranch_execz .LBB19_384
; %bb.368:                              ;   in Loop: Header=BB19_294 Depth=2
	v_mov_b32_e32 v4, 0
	s_mov_b32 s22, -1
	s_mov_b32 s21, exec_lo
	v_cmpx_ne_u32_e32 1, v2
	s_cbranch_execz .LBB19_372
; %bb.369:                              ;   in Loop: Header=BB19_294 Depth=2
	v_and_b32_e32 v4, 0x7ffffffe, v2
	v_mov_b32_e32 v1, v2
	s_mov_b32 s22, 1
	s_mov_b32 s23, 0
	;; [unrolled: 1-line block ×3, first 2 shown]
	v_mov_b32_e32 v5, v4
	s_mov_b32 s25, 0
.LBB19_370:                             ;   Parent Loop BB19_4 Depth=1
                                        ;     Parent Loop BB19_294 Depth=2
                                        ; =>    This Inner Loop Header: Depth=3
	s_delay_alu instid0(VALU_DEP_1)
	v_add_nc_u32_e32 v5, -2, v5
	v_subrev_nc_u32_e32 v7, s22, v1
	v_subrev_nc_u32_e32 v6, s25, v2
	s_add_co_i32 s25, s25, 2
	s_add_co_i32 s22, s22, 2
	v_cmp_eq_u32_e64 s6, 0, v5
	s_clause 0x1
	scratch_store_b64 off, v[6:7], s24 offset:-128
	scratch_store_b64 off, v[38:39], s24
	s_wait_xcnt 0x0
	s_add_co_i32 s24, s24, 8
	s_or_b32 s23, s6, s23
	s_delay_alu instid0(SALU_CYCLE_1)
	s_and_not1_b32 exec_lo, exec_lo, s23
	s_cbranch_execnz .LBB19_370
; %bb.371:                              ;   in Loop: Header=BB19_294 Depth=2
	s_or_b32 exec_lo, exec_lo, s23
	v_cmp_ne_u32_e64 s6, v2, v4
	s_or_not1_b32 s22, s6, exec_lo
.LBB19_372:                             ;   in Loop: Header=BB19_294 Depth=2
	s_or_b32 exec_lo, exec_lo, s21
	s_and_saveexec_b32 s21, s22
	s_cbranch_execz .LBB19_375
; %bb.373:                              ;   in Loop: Header=BB19_294 Depth=2
	v_lshl_add_u32 v1, v4, 2, s17
	v_sub_nc_u32_e32 v4, v2, v4
	s_mov_b32 s22, 0
.LBB19_374:                             ;   Parent Loop BB19_4 Depth=1
                                        ;     Parent Loop BB19_294 Depth=2
                                        ; =>    This Inner Loop Header: Depth=3
	s_clause 0x1
	scratch_store_b32 v1, v4, off offset:-128
	scratch_store_b32 v1, v112, off
	s_wait_xcnt 0x0
	v_dual_add_nc_u32 v4, -1, v4 :: v_dual_add_nc_u32 v1, 4, v1
	s_delay_alu instid0(VALU_DEP_1) | instskip(SKIP_1) | instid1(SALU_CYCLE_1)
	v_cmp_eq_u32_e64 s6, 0, v4
	s_or_b32 s22, s6, s22
	s_and_not1_b32 exec_lo, exec_lo, s22
	s_cbranch_execnz .LBB19_374
.LBB19_375:                             ;   in Loop: Header=BB19_294 Depth=2
	s_or_b32 exec_lo, exec_lo, s21
	v_mov_b32_e32 v4, 0
	s_mov_b32 s21, 0
	s_mov_b32 s22, s17
	;; [unrolled: 1-line block ×3, first 2 shown]
	s_branch .LBB19_379
.LBB19_376:                             ;   in Loop: Header=BB19_379 Depth=3
	s_wait_xcnt 0x0
	s_or_b32 exec_lo, exec_lo, s27
	v_add_nc_u32_e32 v4, 1, v5
	scratch_store_b32 off, v4, s22
.LBB19_377:                             ;   in Loop: Header=BB19_379 Depth=3
	s_wait_xcnt 0x0
	s_or_b32 exec_lo, exec_lo, s25
	v_mov_b32_e32 v4, v1
.LBB19_378:                             ;   in Loop: Header=BB19_379 Depth=3
	s_or_b32 exec_lo, exec_lo, s24
	s_add_co_i32 s23, s23, 1
	s_add_co_i32 s22, s22, 4
	v_cmp_eq_u32_e64 s6, s23, v2
	s_or_b32 s21, s6, s21
	s_delay_alu instid0(SALU_CYCLE_1)
	s_and_not1_b32 exec_lo, exec_lo, s21
	s_cbranch_execz .LBB19_383
.LBB19_379:                             ;   Parent Loop BB19_4 Depth=1
                                        ;     Parent Loop BB19_294 Depth=2
                                        ; =>    This Inner Loop Header: Depth=3
	scratch_load_b32 v1, off, s22 offset:-128
	s_mov_b32 s24, exec_lo
	s_wait_loadcnt 0x0
	v_add_nc_u32_e32 v1, -1, v1
	scratch_store_b32 off, v1, s22 offset:-128
	s_wait_xcnt 0x0
	v_cmpx_eq_u32_e32 0, v1
	s_cbranch_execz .LBB19_378
; %bb.380:                              ;   in Loop: Header=BB19_379 Depth=3
	s_lshl_b32 s26, 1, s23
	s_mov_b32 s25, exec_lo
	v_dual_mov_b32 v6, s26 :: v_dual_bitop2_b32 v5, s26, v4 bitop3:0x40
	v_xor_b32_e32 v1, s26, v4
	scratch_store_b32 off, v1, s32 offset:140
	scratch_store_b32 off, v6, s22 offset:-128
	s_wait_xcnt 0x0
	v_cmpx_ne_u32_e32 0, v5
	s_cbranch_execz .LBB19_377
; %bb.381:                              ;   in Loop: Header=BB19_379 Depth=3
	scratch_load_b32 v5, off, s22
	s_mov_b32 s27, exec_lo
	s_wait_loadcnt 0x0
	v_ctz_i32_b32_e32 v6, v5
	v_cmp_eq_u32_e64 s6, 0, v5
	s_delay_alu instid0(VALU_DEP_1) | instskip(NEXT) | instid1(VALU_DEP_1)
	v_cndmask_b32_e64 v6, v6, v2, s6
	v_add3_u32 v6, s26, -1, v6
	scratch_store_b32 off, v6, s22 offset:-128
	s_wait_xcnt 0x0
	v_cmpx_eq_u32_e32 0, v6
	s_cbranch_execz .LBB19_376
; %bb.382:                              ;   in Loop: Header=BB19_379 Depth=3
	v_dual_mov_b32 v6, s26 :: v_dual_mov_b32 v1, v4
	scratch_store_b32 off, v4, s32 offset:140
	scratch_store_b32 off, v6, s22 offset:-128
	s_branch .LBB19_376
.LBB19_383:                             ;   in Loop: Header=BB19_294 Depth=2
	s_or_b32 exec_lo, exec_lo, s21
.LBB19_384:                             ;   in Loop: Header=BB19_294 Depth=2
	s_delay_alu instid0(SALU_CYCLE_1)
	s_or_b32 exec_lo, exec_lo, s20
	v_mov_b32_e32 v5, v34
	scratch_store_b64 off, v[4:5], s32 offset:116
	s_wait_xcnt 0x0
	s_and_saveexec_b32 s6, vcc_lo
	s_cbranch_execz .LBB19_386
; %bb.385:                              ;   in Loop: Header=BB19_294 Depth=2
	v_dual_ashrrev_i32 v1, 31, v0 :: v_dual_sub_nc_u32 v5, 0, v3
	s_delay_alu instid0(VALU_DEP_1) | instskip(NEXT) | instid1(VALU_DEP_2)
	v_lshl_add_u32 v0, v0, 1, v1
	v_dual_ashrrev_i32 v3, 31, v3 :: v_dual_max_i32 v5, v3, v5
	s_delay_alu instid0(VALU_DEP_2) | instskip(NEXT) | instid1(VALU_DEP_1)
	v_xor_b32_e32 v0, v0, v1
	v_cvt_f32_u32_e32 v2, v0
	v_sub_nc_u32_e32 v4, 0, v0
	s_delay_alu instid0(VALU_DEP_2) | instskip(SKIP_1) | instid1(TRANS32_DEP_1)
	v_rcp_iflag_f32_e32 v2, v2
	v_nop
	v_mul_f32_e32 v2, 0x4f7ffffe, v2
	v_xor_b32_e32 v1, v3, v1
	s_delay_alu instid0(VALU_DEP_2) | instskip(NEXT) | instid1(VALU_DEP_1)
	v_cvt_u32_f32_e32 v2, v2
	v_mul_lo_u32 v4, v4, v2
	s_delay_alu instid0(VALU_DEP_1) | instskip(NEXT) | instid1(VALU_DEP_1)
	v_mul_hi_u32 v4, v2, v4
	v_add_nc_u32_e32 v2, v2, v4
	s_delay_alu instid0(VALU_DEP_1) | instskip(NEXT) | instid1(VALU_DEP_1)
	v_mul_hi_u32 v2, v5, v2
	v_mul_lo_u32 v4, v2, v0
	s_delay_alu instid0(VALU_DEP_1) | instskip(NEXT) | instid1(VALU_DEP_1)
	v_dual_sub_nc_u32 v4, v5, v4 :: v_dual_add_nc_u32 v5, 1, v2
	v_sub_nc_u32_e32 v6, v4, v0
	v_cmp_ge_u32_e32 vcc_lo, v4, v0
	s_delay_alu instid0(VALU_DEP_2) | instskip(NEXT) | instid1(VALU_DEP_1)
	v_dual_cndmask_b32 v2, v2, v5, vcc_lo :: v_dual_cndmask_b32 v4, v4, v6, vcc_lo
	v_add_nc_u32_e32 v5, 1, v2
	s_delay_alu instid0(VALU_DEP_2) | instskip(NEXT) | instid1(VALU_DEP_2)
	v_cmp_ge_u32_e32 vcc_lo, v4, v0
	v_cndmask_b32_e32 v0, v2, v5, vcc_lo
	s_delay_alu instid0(VALU_DEP_1) | instskip(NEXT) | instid1(VALU_DEP_1)
	v_xor_b32_e32 v0, v0, v1
	v_sub_nc_u32_e32 v3, v0, v1
.LBB19_386:                             ;   in Loop: Header=BB19_294 Depth=2
	s_or_b32 exec_lo, exec_lo, s6
	s_delay_alu instid0(SALU_CYCLE_1)
	s_xor_b32 s6, exec_lo, -1
	scratch_store_b32 off, v3, s32 offset:104
.LBB19_387:                             ;   in Loop: Header=BB19_294 Depth=2
	s_wait_xcnt 0x0
	s_or_b32 exec_lo, exec_lo, s12
	s_delay_alu instid0(SALU_CYCLE_1)
	s_and_b32 s12, s6, exec_lo
.LBB19_388:                             ;   in Loop: Header=BB19_294 Depth=2
	s_or_b32 exec_lo, exec_lo, s9
                                        ; implicit-def: $vgpr10
                                        ; implicit-def: $vgpr4_vgpr5
                                        ; implicit-def: $vgpr12
                                        ; implicit-def: $vgpr0
                                        ; implicit-def: $vgpr11
.LBB19_389:                             ;   in Loop: Header=BB19_294 Depth=2
	s_and_not1_saveexec_b32 s8, s8
	s_cbranch_execz .LBB19_293
; %bb.390:                              ;   in Loop: Header=BB19_294 Depth=2
	scratch_load_b32 v1, off, s32 offset:116
	v_cmp_eq_u32_e32 vcc_lo, 0, v10
	s_wait_loadcnt 0x0
	v_cmp_eq_u32_e64 s6, 1, v1
	s_and_b32 s9, vcc_lo, s6
	s_wait_xcnt 0x0
	s_and_saveexec_b32 s6, s9
	s_cbranch_execz .LBB19_292
; %bb.391:                              ;   in Loop: Header=BB19_294 Depth=2
	s_clause 0x1
	scratch_load_b32 v2, off, s32 offset:80
	scratch_load_b64 v[6:7], off, s32 offset:64
	s_wait_loadcnt 0x1
	v_ashrrev_i32_e32 v3, 31, v2
	s_delay_alu instid0(VALU_DEP_1) | instskip(SKIP_1) | instid1(VALU_DEP_1)
	v_add_nc_u64_e32 v[2:3], v[4:5], v[2:3]
	s_wait_loadcnt 0x0
	v_cmp_ge_u64_e32 vcc_lo, v[2:3], v[6:7]
	s_wait_xcnt 0x0
	s_and_b32 exec_lo, exec_lo, vcc_lo
	s_cbranch_execz .LBB19_292
; %bb.392:                              ;   in Loop: Header=BB19_294 Depth=2
	v_sub_nc_u32_e32 v1, 0, v0
	v_dual_add_nc_u32 v3, -1, v12 :: v_dual_sub_nc_u32 v4, 1, v12
	s_delay_alu instid0(VALU_DEP_2) | instskip(NEXT) | instid1(VALU_DEP_1)
	v_max_i32_e32 v0, v0, v1
	v_cvt_f32_u32_e32 v1, v0
	s_delay_alu instid0(VALU_DEP_1) | instskip(SKIP_1) | instid1(TRANS32_DEP_1)
	v_rcp_iflag_f32_e32 v1, v1
	v_nop
	v_dual_mul_f32 v1, 0x4f7ffffe, v1 :: v_dual_sub_nc_u32 v2, 0, v0
	s_delay_alu instid0(VALU_DEP_1) | instskip(NEXT) | instid1(VALU_DEP_1)
	v_cvt_u32_f32_e32 v1, v1
	v_mul_lo_u32 v2, v2, v1
	s_delay_alu instid0(VALU_DEP_1) | instskip(NEXT) | instid1(VALU_DEP_1)
	v_mul_hi_u32 v2, v1, v2
	v_dual_add_nc_u32 v1, v1, v2 :: v_dual_max_i32 v4, v3, v4
	s_delay_alu instid0(VALU_DEP_1) | instskip(NEXT) | instid1(VALU_DEP_1)
	v_mul_hi_u32 v1, v4, v1
	v_mul_lo_u32 v1, v1, v0
	s_delay_alu instid0(VALU_DEP_1) | instskip(NEXT) | instid1(VALU_DEP_1)
	v_dual_sub_nc_u32 v1, v4, v1 :: v_dual_ashrrev_i32 v4, 31, v3
	v_sub_nc_u32_e32 v2, v1, v0
	v_cmp_ge_u32_e32 vcc_lo, v1, v0
	s_delay_alu instid0(VALU_DEP_2) | instskip(NEXT) | instid1(VALU_DEP_1)
	v_cndmask_b32_e32 v1, v1, v2, vcc_lo
	v_sub_nc_u32_e32 v2, v1, v0
	v_cmp_ge_u32_e32 vcc_lo, v1, v0
	s_delay_alu instid0(VALU_DEP_2) | instskip(NEXT) | instid1(VALU_DEP_1)
	v_cndmask_b32_e32 v0, v1, v2, vcc_lo
	v_xor_b32_e32 v0, v0, v4
	s_delay_alu instid0(VALU_DEP_1) | instskip(NEXT) | instid1(VALU_DEP_1)
	v_sub_nc_u32_e32 v0, v4, v0
	v_add_nc_u32_e32 v0, v3, v0
	s_delay_alu instid0(VALU_DEP_1)
	v_cmp_ge_i32_e32 vcc_lo, v11, v0
	s_and_b32 exec_lo, exec_lo, vcc_lo
	s_cbranch_execz .LBB19_292
; %bb.393:                              ;   in Loop: Header=BB19_294 Depth=2
	ds_store_b32 v0, v112 offset:32
	s_branch .LBB19_292
.LBB19_394:
	s_clause 0xd
	scratch_load_b32 v61, off, s32
	scratch_load_b32 v60, off, s32 offset:4
	scratch_load_b32 v59, off, s32 offset:8
	;; [unrolled: 1-line block ×13, first 2 shown]
	s_wait_loadcnt 0x0
	s_wait_kmcnt 0x0
	s_set_pc_i64 s[30:31]
.Lfunc_end19:
	.size	_Z45ncclDevFunc_AllGather_PAT_SIMPLE_Sum_i8_0_0_4v, .Lfunc_end19-_Z45ncclDevFunc_AllGather_PAT_SIMPLE_Sum_i8_0_0_4v
                                        ; -- End function
	.set .L_Z45ncclDevFunc_AllGather_PAT_SIMPLE_Sum_i8_0_0_4v.num_vgpr, 120
	.set .L_Z45ncclDevFunc_AllGather_PAT_SIMPLE_Sum_i8_0_0_4v.num_agpr, 0
	.set .L_Z45ncclDevFunc_AllGather_PAT_SIMPLE_Sum_i8_0_0_4v.numbered_sgpr, 48
	.set .L_Z45ncclDevFunc_AllGather_PAT_SIMPLE_Sum_i8_0_0_4v.num_named_barrier, 0
	.set .L_Z45ncclDevFunc_AllGather_PAT_SIMPLE_Sum_i8_0_0_4v.private_seg_size, 408
	.set .L_Z45ncclDevFunc_AllGather_PAT_SIMPLE_Sum_i8_0_0_4v.uses_vcc, 1
	.set .L_Z45ncclDevFunc_AllGather_PAT_SIMPLE_Sum_i8_0_0_4v.uses_flat_scratch, 1
	.set .L_Z45ncclDevFunc_AllGather_PAT_SIMPLE_Sum_i8_0_0_4v.has_dyn_sized_stack, 0
	.set .L_Z45ncclDevFunc_AllGather_PAT_SIMPLE_Sum_i8_0_0_4v.has_recursion, 0
	.set .L_Z45ncclDevFunc_AllGather_PAT_SIMPLE_Sum_i8_0_0_4v.has_indirect_call, 0
	.section	.AMDGPU.csdata,"",@progbits
; Function info:
; codeLenInByte = 18476
; TotalNumSgprs: 50
; NumVgprs: 120
; ScratchSize: 408
; MemoryBound: 0
	.text
	.p2alignl 7, 3214868480
	.fill 96, 4, 3214868480
	.section	.AMDGPU.gpr_maximums,"",@progbits
	.set amdgpu.max_num_vgpr, 128
	.set amdgpu.max_num_agpr, 0
	.set amdgpu.max_num_sgpr, 76
	.text
	.type	__const.__assert_fail.fmt,@object ; @__const.__assert_fail.fmt
	.section	.rodata.str1.16,"aMS",@progbits,1
	.p2align	4, 0x0
__const.__assert_fail.fmt:
	.asciz	"%s:%u: %s: Device-side assertion `%s' failed.\n"
	.size	__const.__assert_fail.fmt, 47

	.type	.str.4,@object                  ; @.str.4
	.section	.rodata.str1.1,"aMS",@progbits,1
.str.4:
	.asciz	"2*(nrecv+nsend) <= nthreads"
	.size	.str.4, 28

	.type	.str.5,@object                  ; @.str.5
.str.5:
	.asciz	"/root/src/amdgpu-assembly/repos/ROCm__rccl/hipify/src/device/prims_simple.h"
	.size	.str.5, 76

	.type	__const.Primitives.roles,@object ; @__const.Primitives.roles
	.section	.rodata,"a",@progbits
	.p2align	4, 0x0
__const.Primitives.roles:
	.long	4                               ; 0x4
	.long	32                              ; 0x20
	.long	8                               ; 0x8
	.long	16                              ; 0x10
	.long	3                               ; 0x3
	.size	__const.Primitives.roles, 20

	.type	__PRETTY_FUNCTION__._ZN10PrimitivesIa7FuncSumIaE12FanSymmetricILi1EELi0E11ProtoSimpleILi2ELi2ELi0ELi1ELi0ELi0EELi0ELb0ELi0ELi0ELi0EEC2EiiPKiS8_PKvPvmhhhP15ncclDevWorkCollP14ncclDevWorkP2pii,@object ; @__PRETTY_FUNCTION__._ZN10PrimitivesIa7FuncSumIaE12FanSymmetricILi1EELi0E11ProtoSimpleILi2ELi2ELi0ELi1ELi0ELi0EELi0ELb0ELi0ELi0ELi0EEC2EiiPKiS8_PKvPvmhhhP15ncclDevWorkCollP14ncclDevWorkP2pii
	.section	.rodata.str1.1,"aMS",@progbits,1
__PRETTY_FUNCTION__._ZN10PrimitivesIa7FuncSumIaE12FanSymmetricILi1EELi0E11ProtoSimpleILi2ELi2ELi0ELi1ELi0ELi0EELi0ELb0ELi0ELi0ELi0EEC2EiiPKiS8_PKvPvmhhhP15ncclDevWorkCollP14ncclDevWorkP2pii:
	.asciz	"Primitives<signed char, FuncSum<signed char>, FanSymmetric<1>, 0, ProtoSimple<2, 2, 0, 1>, 0>::Primitives(int, int, const int *, const int *, const void *, void *, uint64_t, uint8_t, uint8_t, uint8_t, struct ncclDevWorkColl *, struct ncclDevWorkP2p *, int, int) [T = signed char, RedOp = FuncSum<signed char>, Fan = FanSymmetric<1>, Direct = 0, Proto = ProtoSimple<2, 2, 0, 1>, P2p = 0, isNetOffload = false, Metadata = 0, Pipeline = 0, useAcc = 0]"
	.size	__PRETTY_FUNCTION__._ZN10PrimitivesIa7FuncSumIaE12FanSymmetricILi1EELi0E11ProtoSimpleILi2ELi2ELi0ELi1ELi0ELi0EELi0ELb0ELi0ELi0ELi0EEC2EiiPKiS8_PKvPvmhhhP15ncclDevWorkCollP14ncclDevWorkP2pii, 449

	.type	__const.Primitives.roles.8,@object ; @__const.Primitives.roles.8
	.section	.rodata,"a",@progbits
	.p2align	4, 0x0
__const.Primitives.roles.8:
	.long	4                               ; 0x4
	.long	32                              ; 0x20
	.long	8                               ; 0x8
	.long	16                              ; 0x10
	.long	3                               ; 0x3
	.size	__const.Primitives.roles.8, 20

	.type	__PRETTY_FUNCTION__._ZN10PrimitivesIa7FuncSumIaE12FanSymmetricILi1EELi0E11ProtoSimpleILi2ELi2ELi0ELi2ELi0ELi0EELi0ELb0ELi0ELi0ELi0EEC2EiiPKiS8_PKvPvmhhhP15ncclDevWorkCollP14ncclDevWorkP2pii,@object ; @__PRETTY_FUNCTION__._ZN10PrimitivesIa7FuncSumIaE12FanSymmetricILi1EELi0E11ProtoSimpleILi2ELi2ELi0ELi2ELi0ELi0EELi0ELb0ELi0ELi0ELi0EEC2EiiPKiS8_PKvPvmhhhP15ncclDevWorkCollP14ncclDevWorkP2pii
	.section	.rodata.str1.1,"aMS",@progbits,1
__PRETTY_FUNCTION__._ZN10PrimitivesIa7FuncSumIaE12FanSymmetricILi1EELi0E11ProtoSimpleILi2ELi2ELi0ELi2ELi0ELi0EELi0ELb0ELi0ELi0ELi0EEC2EiiPKiS8_PKvPvmhhhP15ncclDevWorkCollP14ncclDevWorkP2pii:
	.asciz	"Primitives<signed char, FuncSum<signed char>, FanSymmetric<1>, 0, ProtoSimple<2, 2, 0, 2>, 0>::Primitives(int, int, const int *, const int *, const void *, void *, uint64_t, uint8_t, uint8_t, uint8_t, struct ncclDevWorkColl *, struct ncclDevWorkP2p *, int, int) [T = signed char, RedOp = FuncSum<signed char>, Fan = FanSymmetric<1>, Direct = 0, Proto = ProtoSimple<2, 2, 0, 2>, P2p = 0, isNetOffload = false, Metadata = 0, Pipeline = 0, useAcc = 0]"
	.size	__PRETTY_FUNCTION__._ZN10PrimitivesIa7FuncSumIaE12FanSymmetricILi1EELi0E11ProtoSimpleILi2ELi2ELi0ELi2ELi0ELi0EELi0ELb0ELi0ELi0ELi0EEC2EiiPKiS8_PKvPvmhhhP15ncclDevWorkCollP14ncclDevWorkP2pii, 449

	.type	__const.Primitives.roles.10,@object ; @__const.Primitives.roles.10
	.section	.rodata,"a",@progbits
	.p2align	4, 0x0
__const.Primitives.roles.10:
	.long	4                               ; 0x4
	.long	32                              ; 0x20
	.long	8                               ; 0x8
	.long	16                              ; 0x10
	.long	3                               ; 0x3
	.size	__const.Primitives.roles.10, 20

	.type	__PRETTY_FUNCTION__._ZN10PrimitivesIa7FuncSumIaE12FanSymmetricILi1EELi0E11ProtoSimpleILi2ELi2ELi0ELi4ELi0ELi0EELi0ELb0ELi0ELi0ELi0EEC2EiiPKiS8_PKvPvmhhhP15ncclDevWorkCollP14ncclDevWorkP2pii,@object ; @__PRETTY_FUNCTION__._ZN10PrimitivesIa7FuncSumIaE12FanSymmetricILi1EELi0E11ProtoSimpleILi2ELi2ELi0ELi4ELi0ELi0EELi0ELb0ELi0ELi0ELi0EEC2EiiPKiS8_PKvPvmhhhP15ncclDevWorkCollP14ncclDevWorkP2pii
	.section	.rodata.str1.1,"aMS",@progbits,1
__PRETTY_FUNCTION__._ZN10PrimitivesIa7FuncSumIaE12FanSymmetricILi1EELi0E11ProtoSimpleILi2ELi2ELi0ELi4ELi0ELi0EELi0ELb0ELi0ELi0ELi0EEC2EiiPKiS8_PKvPvmhhhP15ncclDevWorkCollP14ncclDevWorkP2pii:
	.asciz	"Primitives<signed char, FuncSum<signed char>, FanSymmetric<1>, 0, ProtoSimple<2, 2, 0, 4>, 0>::Primitives(int, int, const int *, const int *, const void *, void *, uint64_t, uint8_t, uint8_t, uint8_t, struct ncclDevWorkColl *, struct ncclDevWorkP2p *, int, int) [T = signed char, RedOp = FuncSum<signed char>, Fan = FanSymmetric<1>, Direct = 0, Proto = ProtoSimple<2, 2, 0, 4>, P2p = 0, isNetOffload = false, Metadata = 0, Pipeline = 0, useAcc = 0]"
	.size	__PRETTY_FUNCTION__._ZN10PrimitivesIa7FuncSumIaE12FanSymmetricILi1EELi0E11ProtoSimpleILi2ELi2ELi0ELi4ELi0ELi0EELi0ELb0ELi0ELi0ELi0EEC2EiiPKiS8_PKvPvmhhhP15ncclDevWorkCollP14ncclDevWorkP2pii, 449

	.type	__hip_cuid_3bcbbcf2988fa710,@object ; @__hip_cuid_3bcbbcf2988fa710
	.section	.bss,"aw",@nobits
	.globl	__hip_cuid_3bcbbcf2988fa710
__hip_cuid_3bcbbcf2988fa710:
	.byte	0                               ; 0x0
	.size	__hip_cuid_3bcbbcf2988fa710, 1

	.ident	"AMD clang version 22.0.0git (https://github.com/RadeonOpenCompute/llvm-project roc-7.2.4 26084 f58b06dce1f9c15707c5f808fd002e18c2accf7e)"
	.section	".note.GNU-stack","",@progbits
	.addrsig
	.addrsig_sym _Z42ncclDevFunc_AllGather_RING_LL_Sum_i8_0_0_1v
	.addrsig_sym _Z46ncclDevFunc_AllGather_RING_SIMPLE_Sum_i8_0_0_1v
	.addrsig_sym _Z41ncclDevFunc_AllGather_PAT_LL_Sum_i8_0_0_1v
	.addrsig_sym _Z45ncclDevFunc_AllGather_PAT_SIMPLE_Sum_i8_0_0_1v
	.addrsig_sym _Z42ncclDevFunc_AllGather_RING_LL_Sum_i8_0_0_2v
	.addrsig_sym _Z46ncclDevFunc_AllGather_RING_SIMPLE_Sum_i8_0_0_2v
	.addrsig_sym _Z41ncclDevFunc_AllGather_PAT_LL_Sum_i8_0_0_2v
	.addrsig_sym _Z45ncclDevFunc_AllGather_PAT_SIMPLE_Sum_i8_0_0_2v
	.addrsig_sym _Z42ncclDevFunc_AllGather_RING_LL_Sum_i8_0_0_4v
	.addrsig_sym _Z46ncclDevFunc_AllGather_RING_SIMPLE_Sum_i8_0_0_4v
	.addrsig_sym _Z41ncclDevFunc_AllGather_PAT_LL_Sum_i8_0_0_4v
	.addrsig_sym _Z45ncclDevFunc_AllGather_PAT_SIMPLE_Sum_i8_0_0_4v
	.addrsig_sym ncclShmem
	.addrsig_sym ncclShmemPerWarp
	.addrsig_sym __hip_cuid_3bcbbcf2988fa710
	.amdgpu_metadata
---
amdhsa.kernels:  []
amdhsa.target:   amdgcn-amd-amdhsa--gfx1250
amdhsa.version:
  - 1
  - 2
...

	.end_amdgpu_metadata
